;; amdgpu-corpus repo=ROCm/rocFFT kind=compiled arch=gfx906 opt=O3
	.text
	.amdgcn_target "amdgcn-amd-amdhsa--gfx906"
	.amdhsa_code_object_version 6
	.protected	bluestein_single_fwd_len1100_dim1_sp_op_CI_CI ; -- Begin function bluestein_single_fwd_len1100_dim1_sp_op_CI_CI
	.globl	bluestein_single_fwd_len1100_dim1_sp_op_CI_CI
	.p2align	8
	.type	bluestein_single_fwd_len1100_dim1_sp_op_CI_CI,@function
bluestein_single_fwd_len1100_dim1_sp_op_CI_CI: ; @bluestein_single_fwd_len1100_dim1_sp_op_CI_CI
; %bb.0:
	s_load_dwordx4 s[16:19], s[4:5], 0x28
	v_mul_u32_u24_e32 v1, 0x254, v0
	v_add_u32_sdwa v84, s6, v1 dst_sel:DWORD dst_unused:UNUSED_PAD src0_sel:DWORD src1_sel:WORD_1
	v_mov_b32_e32 v85, 0
	s_waitcnt lgkmcnt(0)
	v_cmp_gt_u64_e32 vcc, s[16:17], v[84:85]
	s_and_saveexec_b64 s[0:1], vcc
	s_cbranch_execz .LBB0_10
; %bb.1:
	s_load_dwordx4 s[8:11], s[4:5], 0x18
	s_load_dwordx4 s[0:3], s[4:5], 0x0
	s_movk_i32 s6, 0x6e
	v_mul_lo_u16_sdwa v1, v1, s6 dst_sel:DWORD dst_unused:UNUSED_PAD src0_sel:WORD_1 src1_sel:DWORD
	v_sub_u16_e32 v95, v0, v1
	s_waitcnt lgkmcnt(0)
	s_load_dwordx4 s[12:15], s[8:9], 0x0
	v_lshlrev_b32_e32 v96, 3, v95
	global_load_dwordx2 v[89:90], v96, s[0:1]
	v_add_u32_e32 v26, 0x1400, v96
	v_add_u32_e32 v27, 0xc00, v96
	s_waitcnt lgkmcnt(0)
	v_mad_u64_u32 v[0:1], s[8:9], s14, v84, 0
	v_mad_u64_u32 v[2:3], s[8:9], s12, v95, 0
	s_mul_i32 s7, s13, 0x1130
	v_lshlrev_b32_e32 v40, 1, v95
	v_mad_u64_u32 v[4:5], s[8:9], s15, v84, v[1:2]
	v_lshlrev_b32_e32 v54, 4, v95
	v_and_b32_e32 v41, 1, v95
	v_mad_u64_u32 v[5:6], s[8:9], s13, v95, v[3:4]
	v_mov_b32_e32 v1, v4
	v_lshlrev_b64 v[0:1], 3, v[0:1]
	v_mov_b32_e32 v6, s19
	v_mov_b32_e32 v3, v5
	v_add_co_u32_e32 v4, vcc, s18, v0
	v_addc_co_u32_e32 v5, vcc, v6, v1, vcc
	v_lshlrev_b64 v[0:1], 3, v[2:3]
	v_mov_b32_e32 v2, s1
	v_add_co_u32_e32 v0, vcc, v4, v0
	v_addc_co_u32_e32 v1, vcc, v5, v1, vcc
	v_add_co_u32_e32 v8, vcc, s0, v96
	s_mul_hi_u32 s8, s12, 0x1130
	v_addc_co_u32_e32 v9, vcc, 0, v2, vcc
	s_add_i32 s7, s8, s7
	s_mul_i32 s8, s12, 0x1130
	v_mov_b32_e32 v3, s7
	v_add_co_u32_e32 v2, vcc, s8, v0
	v_addc_co_u32_e32 v3, vcc, v1, v3, vcc
	s_movk_i32 s9, 0x1000
	global_load_dwordx2 v[4:5], v[0:1], off
	global_load_dwordx2 v[6:7], v[2:3], off
	v_add_co_u32_e32 v0, vcc, s9, v8
	s_mul_i32 s9, s13, 0xfffff240
	s_mul_hi_u32 s13, s12, 0xfffff240
	s_sub_i32 s13, s13, s12
	v_addc_co_u32_e32 v1, vcc, 0, v9, vcc
	s_add_i32 s9, s13, s9
	s_mulk_i32 s12, 0xf240
	v_mov_b32_e32 v8, s9
	v_add_co_u32_e32 v2, vcc, s12, v2
	v_addc_co_u32_e32 v3, vcc, v3, v8, vcc
	v_mov_b32_e32 v9, s7
	v_add_co_u32_e32 v8, vcc, s8, v2
	v_addc_co_u32_e32 v9, vcc, v3, v9, vcc
	;; [unrolled: 3-line block ×3, first 2 shown]
	global_load_dwordx2 v[85:86], v[0:1], off offset:304
	global_load_dwordx2 v[12:13], v[2:3], off
	global_load_dwordx2 v[14:15], v[8:9], off
	global_load_dwordx2 v[16:17], v[10:11], off
	global_load_dwordx2 v[91:92], v96, s[0:1] offset:880
	global_load_dwordx2 v[82:83], v96, s[0:1] offset:1760
	v_mov_b32_e32 v3, s7
	v_add_co_u32_e32 v2, vcc, s8, v10
	v_addc_co_u32_e32 v3, vcc, v11, v3, vcc
	global_load_dwordx2 v[8:9], v[2:3], off
	global_load_dwordx2 v[87:88], v[0:1], off offset:1184
	global_load_dwordx2 v[80:81], v[0:1], off offset:2064
	v_mov_b32_e32 v10, s9
	v_add_co_u32_e32 v2, vcc, s12, v2
	v_addc_co_u32_e32 v3, vcc, v3, v10, vcc
	global_load_dwordx2 v[10:11], v[2:3], off
	global_load_dwordx2 v[78:79], v96, s[0:1] offset:2640
	v_mov_b32_e32 v18, s7
	v_add_co_u32_e32 v2, vcc, s8, v2
	v_addc_co_u32_e32 v3, vcc, v3, v18, vcc
	global_load_dwordx2 v[18:19], v[2:3], off
	global_load_dwordx2 v[76:77], v[0:1], off offset:2944
	v_mov_b32_e32 v20, s9
	v_add_co_u32_e32 v2, vcc, s12, v2
	v_addc_co_u32_e32 v3, vcc, v3, v20, vcc
	global_load_dwordx2 v[20:21], v[2:3], off
	global_load_dwordx2 v[74:75], v96, s[0:1] offset:3520
	v_mov_b32_e32 v22, s7
	v_add_co_u32_e32 v2, vcc, s8, v2
	v_addc_co_u32_e32 v3, vcc, v3, v22, vcc
	global_load_dwordx2 v[22:23], v[2:3], off
	global_load_dwordx2 v[72:73], v[0:1], off offset:3824
	s_load_dwordx4 s[8:11], s[10:11], 0x0
	v_add_co_u32_e32 v42, vcc, s6, v95
	v_lshlrev_b32_e32 v55, 4, v42
	s_movk_i32 s6, 0xfc
	s_load_dwordx2 s[4:5], s[4:5], 0x38
	v_add_u32_e32 v43, 0x1b8, v40
	v_add_u32_e32 v44, 0x294, v40
	;; [unrolled: 1-line block ×3, first 2 shown]
	s_waitcnt vmcnt(18)
	v_mul_f32_e32 v0, v5, v90
	v_mul_f32_e32 v1, v4, v90
	v_fmac_f32_e32 v0, v4, v89
	v_fma_f32 v1, v5, v89, -v1
	s_waitcnt vmcnt(16)
	v_mul_f32_e32 v2, v7, v86
	v_mul_f32_e32 v3, v6, v86
	v_fmac_f32_e32 v2, v6, v85
	v_fma_f32 v3, v7, v85, -v3
	ds_write_b64 v96, v[2:3] offset:4400
	s_waitcnt vmcnt(12)
	v_mul_f32_e32 v2, v13, v92
	v_mul_f32_e32 v3, v12, v92
	v_fmac_f32_e32 v2, v12, v91
	v_fma_f32 v3, v13, v91, -v3
	ds_write2_b64 v96, v[0:1], v[2:3] offset1:110
	s_waitcnt vmcnt(9)
	v_mul_f32_e32 v0, v15, v88
	v_mul_f32_e32 v1, v14, v88
	s_waitcnt vmcnt(8)
	v_mul_f32_e32 v4, v9, v81
	v_mul_f32_e32 v5, v8, v81
	v_fmac_f32_e32 v0, v14, v87
	v_fma_f32 v1, v15, v87, -v1
	v_fmac_f32_e32 v4, v8, v80
	v_fma_f32 v5, v9, v80, -v5
	v_mul_f32_e32 v2, v17, v83
	v_mul_f32_e32 v3, v16, v83
	ds_write2_b64 v26, v[0:1], v[4:5] offset0:20 offset1:130
	s_waitcnt vmcnt(6)
	v_mul_f32_e32 v4, v11, v79
	v_mul_f32_e32 v0, v10, v79
	v_fmac_f32_e32 v2, v16, v82
	v_fma_f32 v3, v17, v82, -v3
	v_fmac_f32_e32 v4, v10, v78
	v_fma_f32 v5, v11, v78, -v0
	v_add_u32_e32 v1, 0x400, v96
	s_waitcnt vmcnt(4)
	v_mul_f32_e32 v0, v18, v77
	ds_write2_b64 v1, v[2:3], v[4:5] offset0:92 offset1:202
	v_fma_f32 v3, v19, v76, -v0
	s_waitcnt vmcnt(2)
	v_mul_f32_e32 v4, v21, v75
	v_mul_f32_e32 v0, v20, v75
	v_fmac_f32_e32 v4, v20, v74
	v_fma_f32 v5, v21, v74, -v0
	v_mul_f32_e32 v2, v19, v77
	ds_write_b64 v96, v[4:5] offset:3520
	s_waitcnt vmcnt(0)
	v_mul_f32_e32 v4, v23, v73
	v_mul_f32_e32 v0, v22, v73
	v_fmac_f32_e32 v2, v18, v76
	v_fmac_f32_e32 v4, v22, v72
	v_fma_f32 v5, v23, v72, -v0
	v_add_u32_e32 v0, 0x1800, v96
	ds_write2_b64 v0, v[2:3], v[4:5] offset0:112 offset1:222
	s_waitcnt lgkmcnt(0)
	s_barrier
	ds_read2_b64 v[2:5], v96 offset1:110
	ds_read2_b64 v[6:9], v27 offset0:56 offset1:166
	ds_read2_b64 v[10:13], v26 offset0:20 offset1:130
	;; [unrolled: 1-line block ×4, first 2 shown]
	s_waitcnt lgkmcnt(0)
	s_barrier
	v_sub_f32_e32 v10, v4, v10
	v_sub_f32_e32 v24, v2, v8
	;; [unrolled: 1-line block ×3, first 2 shown]
	v_fma_f32 v8, v4, 2.0, -v10
	v_sub_f32_e32 v4, v14, v12
	v_sub_f32_e32 v25, v3, v9
	v_fma_f32 v22, v2, 2.0, -v24
	v_fma_f32 v9, v5, 2.0, -v11
	v_sub_f32_e32 v5, v15, v13
	v_fma_f32 v2, v14, 2.0, -v4
	v_sub_f32_e32 v14, v16, v18
	v_sub_f32_e32 v18, v6, v20
	v_fma_f32 v23, v3, 2.0, -v25
	v_fma_f32 v3, v15, 2.0, -v5
	v_sub_f32_e32 v15, v17, v19
	v_fma_f32 v12, v16, 2.0, -v14
	v_sub_f32_e32 v19, v7, v21
	v_fma_f32 v16, v6, 2.0, -v18
	v_lshlrev_b32_e32 v6, 3, v40
	v_fma_f32 v13, v17, 2.0, -v15
	v_fma_f32 v17, v7, 2.0, -v19
	ds_write_b128 v54, v[22:25]
	ds_write_b128 v55, v[8:11]
	ds_write_b128 v6, v[2:5] offset:3520
	ds_write_b128 v6, v[12:15] offset:5280
	;; [unrolled: 1-line block ×3, first 2 shown]
	v_lshlrev_b32_e32 v2, 3, v41
	s_waitcnt lgkmcnt(0)
	s_barrier
	global_load_dwordx2 v[52:53], v2, s[2:3]
	ds_read2_b64 v[2:5], v27 offset0:56 offset1:166
	ds_read2_b64 v[6:9], v96 offset1:110
	ds_read2_b64 v[10:13], v26 offset0:20 offset1:130
	ds_read2_b64 v[14:17], v1 offset0:92 offset1:202
	ds_read2_b64 v[18:21], v0 offset0:112 offset1:222
	s_waitcnt vmcnt(0) lgkmcnt(0)
	s_barrier
	v_mul_f32_e32 v22, v5, v53
	v_fma_f32 v22, v4, v52, -v22
	v_mul_f32_e32 v4, v4, v53
	v_fmac_f32_e32 v4, v5, v52
	v_mul_f32_e32 v5, v11, v53
	v_fma_f32 v5, v10, v52, -v5
	v_mul_f32_e32 v10, v10, v53
	v_fmac_f32_e32 v10, v11, v52
	;; [unrolled: 4-line block ×5, first 2 shown]
	v_sub_f32_e32 v38, v2, v19
	v_sub_f32_e32 v23, v7, v4
	v_lshlrev_b32_e32 v4, 1, v42
	v_sub_f32_e32 v39, v3, v36
	v_fma_f32 v36, v2, 2.0, -v38
	v_and_or_b32 v2, v40, s6, v41
	s_movk_i32 s6, 0x1fc
	v_lshlrev_b32_e32 v99, 3, v2
	v_and_or_b32 v2, v4, s6, v41
	s_movk_i32 s6, 0x3fc
	v_lshlrev_b32_e32 v100, 3, v2
	v_and_or_b32 v2, v43, s6, v41
	v_lshlrev_b32_e32 v101, 3, v2
	v_and_or_b32 v2, v44, s6, v41
	s_movk_i32 s6, 0x7fc
	v_sub_f32_e32 v22, v6, v22
	v_sub_f32_e32 v26, v8, v5
	;; [unrolled: 1-line block ×7, first 2 shown]
	v_lshlrev_b32_e32 v102, 3, v2
	v_and_or_b32 v2, v45, s6, v41
	s_movk_i32 s6, 0x64
	v_fma_f32 v20, v6, 2.0, -v22
	v_fma_f32 v21, v7, 2.0, -v23
	;; [unrolled: 1-line block ×9, first 2 shown]
	v_lshlrev_b32_e32 v103, 3, v2
	v_cmp_gt_u16_e32 vcc, s6, v95
	ds_write2_b64 v99, v[20:21], v[22:23] offset1:2
	ds_write2_b64 v100, v[24:25], v[26:27] offset1:2
	;; [unrolled: 1-line block ×5, first 2 shown]
	s_waitcnt lgkmcnt(0)
	s_barrier
	s_waitcnt lgkmcnt(0)
                                        ; implicit-def: $vgpr40
	s_and_saveexec_b64 s[6:7], vcc
	s_cbranch_execz .LBB0_3
; %bb.2:
	ds_read2_b64 v[20:23], v96 offset1:100
	ds_read2_b64 v[24:27], v1 offset0:72 offset1:172
	v_add_u32_e32 v1, 0x800, v96
	ds_read2_b64 v[28:31], v1 offset0:144 offset1:244
	v_add_u32_e32 v1, 0x1000, v96
	ds_read2_b64 v[32:35], v1 offset0:88 offset1:188
	ds_read2_b64 v[36:39], v0 offset0:32 offset1:132
	ds_read_b64 v[40:41], v96 offset:8000
.LBB0_3:
	s_or_b64 exec, exec, s[6:7]
	v_mov_b32_e32 v0, s2
	v_and_b32_e32 v97, 3, v95
	s_movk_i32 s6, 0x50
	v_mov_b32_e32 v1, s3
	v_mad_u64_u32 v[46:47], s[6:7], v97, s6, v[0:1]
	global_load_dwordx4 v[12:15], v[46:47], off offset:16
	global_load_dwordx4 v[4:7], v[46:47], off offset:32
	;; [unrolled: 1-line block ×5, first 2 shown]
	s_mov_b32 s12, 0x3f575c64
	s_mov_b32 s13, 0x3ed4b147
	;; [unrolled: 1-line block ×5, first 2 shown]
	v_lshrrev_b32_e32 v98, 2, v95
	s_waitcnt vmcnt(0) lgkmcnt(0)
	s_barrier
	v_mul_f32_e32 v56, v23, v13
	v_mul_f32_e32 v46, v22, v13
	;; [unrolled: 1-line block ×13, first 2 shown]
	v_fma_f32 v30, v30, v0, -v66
	v_fma_f32 v66, v22, v12, -v56
	v_fmac_f32_e32 v46, v23, v12
	v_fmac_f32_e32 v59, v35, v8
	v_fma_f32 v35, v40, v18, -v71
	v_fmac_f32_e32 v64, v41, v18
	v_mul_f32_e32 v58, v27, v5
	v_mul_f32_e32 v48, v26, v5
	;; [unrolled: 1-line block ×5, first 2 shown]
	v_fma_f32 v61, v24, v14, -v57
	v_fmac_f32_e32 v47, v25, v14
	v_fmac_f32_e32 v50, v31, v0
	v_fma_f32 v31, v32, v2, -v67
	v_fma_f32 v32, v34, v8, -v68
	;; [unrolled: 1-line block ×3, first 2 shown]
	v_fmac_f32_e32 v62, v39, v16
	v_sub_f32_e32 v110, v66, v35
	v_sub_f32_e32 v70, v46, v64
	v_mul_f32_e32 v65, v29, v7
	v_mul_f32_e32 v49, v28, v7
	v_fma_f32 v63, v26, v4, -v58
	v_fmac_f32_e32 v48, v27, v4
	v_fmac_f32_e32 v51, v33, v2
	v_fma_f32 v33, v36, v10, -v69
	v_fmac_f32_e32 v60, v37, v10
	v_add_f32_e32 v26, v46, v64
	v_sub_f32_e32 v108, v61, v34
	v_sub_f32_e32 v71, v47, v62
	v_mul_f32_e32 v38, 0xbf0a6770, v70
	v_mul_f32_e32 v69, 0xbf0a6770, v110
	v_fma_f32 v65, v28, v6, -v65
	v_fmac_f32_e32 v49, v29, v6
	v_add_f32_e32 v22, v66, v35
	v_add_f32_e32 v27, v47, v62
	v_sub_f32_e32 v109, v63, v33
	v_sub_f32_e32 v105, v48, v60
	v_mul_f32_e32 v67, 0xbf68dda4, v108
	v_mul_f32_e32 v40, 0xbf68dda4, v71
	v_fma_f32 v36, v26, s12, -v69
	v_mov_b32_e32 v56, v38
	v_add_f32_e32 v23, v61, v34
	v_add_f32_e32 v28, v48, v60
	v_sub_f32_e32 v104, v49, v59
	v_sub_f32_e32 v111, v65, v32
	v_mul_f32_e32 v68, 0xbf7d64f0, v109
	v_mul_f32_e32 v41, 0xbf7d64f0, v105
	v_fma_f32 v37, v27, s13, -v67
	v_mov_b32_e32 v57, v40
	v_add_f32_e32 v36, v21, v36
	v_fmac_f32_e32 v56, 0x3f575c64, v22
	v_add_f32_e32 v25, v63, v33
	v_add_f32_e32 v29, v49, v59
	v_mul_f32_e32 v39, 0xbf4178ce, v104
	v_fma_f32 v58, v28, s14, -v68
	v_mov_b32_e32 v93, v41
	v_fmac_f32_e32 v57, 0x3ed4b147, v23
	v_add_f32_e32 v36, v37, v36
	v_add_f32_e32 v37, v20, v56
	v_mul_f32_e32 v107, 0xbf4178ce, v111
	v_sub_f32_e32 v113, v50, v51
	v_add_f32_e32 v24, v65, v32
	v_mov_b32_e32 v94, v39
	v_fmac_f32_e32 v93, 0xbe11bafb, v25
	v_add_f32_e32 v37, v57, v37
	v_add_f32_e32 v36, v58, v36
	v_fma_f32 v56, v29, s15, -v107
	v_mul_f32_e32 v106, 0xbe903f40, v113
	v_fmac_f32_e32 v94, 0xbf27a4f4, v24
	v_add_f32_e32 v37, v93, v37
	v_add_f32_e32 v56, v56, v36
	v_add_f32_e32 v36, v30, v31
	v_mov_b32_e32 v57, v106
	v_add_f32_e32 v37, v94, v37
	v_fmac_f32_e32 v57, 0xbf75a155, v36
	v_sub_f32_e32 v114, v30, v31
	v_add_f32_e32 v93, v57, v37
	v_add_f32_e32 v37, v50, v51
	v_mul_f32_e32 v112, 0xbe903f40, v114
	v_fma_f32 v57, v37, s16, -v112
	v_add_f32_e32 v94, v57, v56
	v_lshlrev_b32_e32 v58, 3, v43
	v_lshlrev_b32_e32 v57, 3, v44
	v_lshlrev_b32_e32 v56, 3, v45
	s_and_saveexec_b64 s[6:7], vcc
	s_cbranch_execz .LBB0_5
; %bb.4:
	v_mul_f32_e32 v121, 0xbe11bafb, v26
	v_mov_b32_e32 v43, v121
	v_mul_f32_e32 v122, 0xbf75a155, v27
	v_fmac_f32_e32 v43, 0x3f7d64f0, v110
	v_mov_b32_e32 v44, v122
	v_add_f32_e32 v43, v21, v43
	v_fmac_f32_e32 v44, 0xbe903f40, v108
	v_mul_f32_e32 v132, 0x3ed4b147, v28
	v_add_f32_e32 v43, v44, v43
	v_mov_b32_e32 v44, v132
	v_fmac_f32_e32 v44, 0xbf68dda4, v109
	v_mul_f32_e32 v133, 0x3f575c64, v29
	v_add_f32_e32 v43, v44, v43
	v_mov_b32_e32 v44, v133
	;; [unrolled: 4-line block ×4, first 2 shown]
	v_mul_f32_e32 v136, 0x3e903f40, v71
	v_fmac_f32_e32 v43, 0xbe11bafb, v22
	v_mov_b32_e32 v115, v136
	v_add_f32_e32 v43, v20, v43
	v_fmac_f32_e32 v115, 0xbf75a155, v23
	v_mul_f32_e32 v137, 0x3f68dda4, v105
	v_add_f32_e32 v43, v115, v43
	v_mov_b32_e32 v115, v137
	v_fmac_f32_e32 v115, 0x3ed4b147, v25
	v_mul_f32_e32 v138, 0xbf0a6770, v104
	v_add_f32_e32 v43, v115, v43
	v_mov_b32_e32 v115, v138
	;; [unrolled: 4-line block ×4, first 2 shown]
	v_mul_f32_e32 v118, 0x3f575c64, v27
	v_fmac_f32_e32 v115, 0x3e903f40, v110
	v_mov_b32_e32 v116, v118
	v_add_f32_e32 v115, v21, v115
	v_fmac_f32_e32 v116, 0xbf0a6770, v108
	v_mul_f32_e32 v119, 0xbf27a4f4, v28
	v_add_f32_e32 v115, v116, v115
	v_mov_b32_e32 v116, v119
	v_mul_f32_e32 v45, 0x3f575c64, v22
	v_mul_f32_e32 v123, 0x3f575c64, v26
	v_fmac_f32_e32 v116, 0x3f4178ce, v109
	v_mul_f32_e32 v120, 0x3ed4b147, v29
	v_mul_f32_e32 v124, 0x3ed4b147, v23
	;; [unrolled: 1-line block ×3, first 2 shown]
	v_add_f32_e32 v115, v116, v115
	v_mov_b32_e32 v116, v120
	v_add_f32_e32 v69, v69, v123
	v_sub_f32_e32 v38, v45, v38
	v_mul_f32_e32 v126, 0xbe11bafb, v25
	v_mul_f32_e32 v127, 0xbe11bafb, v28
	v_fmac_f32_e32 v116, 0xbf68dda4, v111
	v_mul_f32_e32 v140, 0xbe11bafb, v37
	v_add_f32_e32 v69, v21, v69
	v_add_f32_e32 v67, v67, v125
	;; [unrolled: 1-line block ×3, first 2 shown]
	v_sub_f32_e32 v40, v124, v40
	v_mul_f32_e32 v128, 0xbf27a4f4, v24
	v_mul_f32_e32 v129, 0xbf27a4f4, v29
	v_add_f32_e32 v115, v116, v115
	v_mov_b32_e32 v116, v140
	v_add_f32_e32 v67, v67, v69
	v_add_f32_e32 v68, v68, v127
	;; [unrolled: 1-line block ×3, first 2 shown]
	v_sub_f32_e32 v40, v126, v41
	v_mul_f32_e32 v130, 0xbf75a155, v36
	v_mul_f32_e32 v131, 0xbf75a155, v37
	v_fmac_f32_e32 v116, 0x3f7d64f0, v114
	v_mul_f32_e32 v141, 0xbe903f40, v70
	v_add_f32_e32 v67, v68, v67
	v_add_f32_e32 v68, v107, v129
	;; [unrolled: 1-line block ×3, first 2 shown]
	v_sub_f32_e32 v39, v128, v39
	v_add_f32_e32 v116, v116, v115
	v_mov_b32_e32 v115, v141
	v_mul_f32_e32 v142, 0x3f0a6770, v71
	v_add_f32_e32 v67, v68, v67
	v_add_f32_e32 v68, v112, v131
	v_add_f32_e32 v38, v39, v38
	v_sub_f32_e32 v39, v130, v106
	v_fmac_f32_e32 v115, 0xbf75a155, v22
	v_mov_b32_e32 v143, v142
	v_fmac_f32_e32 v117, 0xbe903f40, v110
	v_add_f32_e32 v68, v68, v67
	v_add_f32_e32 v67, v39, v38
	;; [unrolled: 1-line block ×4, first 2 shown]
	v_fmac_f32_e32 v143, 0x3f575c64, v23
	v_add_f32_e32 v117, v21, v117
	v_fmac_f32_e32 v118, 0x3f0a6770, v108
	v_add_f32_e32 v38, v38, v47
	v_add_f32_e32 v115, v143, v115
	v_mul_f32_e32 v143, 0xbf4178ce, v105
	v_add_f32_e32 v117, v118, v117
	v_fmac_f32_e32 v119, 0xbf4178ce, v109
	v_fmac_f32_e32 v121, 0xbf7d64f0, v110
	v_add_f32_e32 v38, v38, v48
	v_mov_b32_e32 v144, v143
	v_add_f32_e32 v117, v119, v117
	v_fmac_f32_e32 v120, 0x3f68dda4, v111
	v_add_f32_e32 v121, v21, v121
	v_fmac_f32_e32 v122, 0x3e903f40, v108
	;; [unrolled: 2-line block ×5, first 2 shown]
	v_add_f32_e32 v38, v38, v50
	v_add_f32_e32 v115, v144, v115
	v_mul_f32_e32 v144, 0x3f68dda4, v104
	v_add_f32_e32 v118, v140, v117
	v_fma_f32 v117, v22, s16, -v141
	v_add_f32_e32 v121, v132, v121
	v_fmac_f32_e32 v133, 0xbf0a6770, v111
	v_add_f32_e32 v38, v38, v51
	v_mov_b32_e32 v145, v144
	v_add_f32_e32 v117, v20, v117
	v_fma_f32 v119, v23, s12, -v142
	v_add_f32_e32 v121, v133, v121
	v_fmac_f32_e32 v134, 0xbf4178ce, v114
	v_add_f32_e32 v38, v38, v59
	v_fmac_f32_e32 v145, 0x3ed4b147, v24
	v_add_f32_e32 v117, v119, v117
	v_fma_f32 v119, v25, s15, -v143
	v_add_f32_e32 v122, v134, v121
	v_fma_f32 v121, v22, s14, -v135
	v_add_f32_e32 v38, v38, v60
	v_add_f32_e32 v115, v145, v115
	v_mul_f32_e32 v145, 0xbf7d64f0, v113
	v_add_f32_e32 v117, v119, v117
	v_fma_f32 v119, v24, s13, -v144
	v_add_f32_e32 v121, v20, v121
	v_fma_f32 v132, v23, s16, -v136
	v_add_f32_e32 v38, v38, v62
	v_add_f32_e32 v117, v119, v117
	v_fma_f32 v119, v36, s14, -v145
	v_mul_f32_e32 v140, 0xbf4178ce, v110
	v_add_f32_e32 v121, v132, v121
	v_fma_f32 v132, v25, s13, -v137
	v_add_f32_e32 v39, v38, v64
	v_add_f32_e32 v38, v20, v66
	;; [unrolled: 1-line block ×3, first 2 shown]
	v_mov_b32_e32 v119, v140
	v_mul_f32_e32 v141, 0x3f7d64f0, v108
	v_add_f32_e32 v121, v132, v121
	v_fma_f32 v132, v24, s12, -v138
	v_add_f32_e32 v38, v38, v61
	v_fmac_f32_e32 v119, 0xbf27a4f4, v26
	v_mov_b32_e32 v120, v141
	v_add_f32_e32 v121, v132, v121
	v_fma_f32 v132, v36, s15, -v139
	v_mul_f32_e32 v110, 0xbf68dda4, v110
	v_add_f32_e32 v38, v38, v63
	v_add_f32_e32 v119, v21, v119
	v_fmac_f32_e32 v120, 0xbe11bafb, v27
	v_mul_f32_e32 v142, 0xbf0a6770, v109
	v_add_f32_e32 v121, v132, v121
	v_mov_b32_e32 v132, v110
	v_mul_f32_e32 v133, 0xbf4178ce, v108
	v_add_f32_e32 v38, v38, v65
	v_add_f32_e32 v119, v120, v119
	v_mov_b32_e32 v120, v142
	v_fmac_f32_e32 v132, 0x3ed4b147, v26
	v_mov_b32_e32 v108, v133
	v_add_f32_e32 v30, v38, v30
	v_fmac_f32_e32 v120, 0x3f575c64, v28
	v_mul_f32_e32 v143, 0xbe903f40, v111
	v_add_f32_e32 v132, v21, v132
	v_fmac_f32_e32 v108, 0xbf27a4f4, v27
	v_add_f32_e32 v30, v30, v31
	v_add_f32_e32 v119, v120, v119
	v_mov_b32_e32 v120, v143
	v_add_f32_e32 v108, v108, v132
	v_mul_f32_e32 v132, 0x3e903f40, v109
	v_add_f32_e32 v30, v30, v32
	v_fmac_f32_e32 v120, 0xbf75a155, v29
	v_mul_f32_e32 v144, 0x3f68dda4, v114
	v_mov_b32_e32 v109, v132
	v_add_f32_e32 v30, v30, v33
	v_mov_b32_e32 v146, v145
	v_add_f32_e32 v119, v120, v119
	v_mov_b32_e32 v120, v144
	v_fmac_f32_e32 v109, 0xbf75a155, v28
	v_mul_f32_e32 v111, 0x3f7d64f0, v111
	v_add_f32_e32 v30, v30, v34
	v_fmac_f32_e32 v146, 0xbe11bafb, v36
	v_fmac_f32_e32 v120, 0x3ed4b147, v37
	v_mul_f32_e32 v145, 0xbf4178ce, v70
	v_add_f32_e32 v108, v109, v108
	v_mov_b32_e32 v109, v111
	v_add_f32_e32 v38, v30, v35
	v_fma_f32 v30, v26, s15, -v140
	v_add_f32_e32 v115, v146, v115
	v_add_f32_e32 v120, v120, v119
	v_fma_f32 v119, v22, s15, -v145
	v_mul_f32_e32 v146, 0x3f7d64f0, v71
	v_fmac_f32_e32 v109, 0xbe11bafb, v29
	v_mul_f32_e32 v114, 0x3f0a6770, v114
	v_add_f32_e32 v30, v21, v30
	v_fma_f32 v31, v27, s14, -v141
	v_add_f32_e32 v119, v20, v119
	v_fma_f32 v147, v23, s14, -v146
	v_add_f32_e32 v108, v109, v108
	v_mov_b32_e32 v109, v114
	v_add_f32_e32 v30, v31, v30
	v_fma_f32 v31, v28, s12, -v142
	v_add_f32_e32 v119, v147, v119
	v_mul_f32_e32 v147, 0xbf0a6770, v105
	v_fmac_f32_e32 v109, 0x3f575c64, v37
	v_mul_f32_e32 v70, 0xbf68dda4, v70
	v_add_f32_e32 v30, v31, v30
	v_fma_f32 v31, v29, s16, -v143
	v_fma_f32 v148, v25, s12, -v147
	v_add_f32_e32 v109, v109, v108
	v_fma_f32 v108, v22, s13, -v70
	v_mul_f32_e32 v71, 0xbf4178ce, v71
	v_add_f32_e32 v30, v31, v30
	v_fma_f32 v31, v37, s13, -v144
	v_fmac_f32_e32 v145, 0xbf27a4f4, v22
	v_fma_f32 v26, v26, s13, -v110
	v_fmac_f32_e32 v70, 0x3ed4b147, v22
	v_add_f32_e32 v119, v148, v119
	v_mul_f32_e32 v148, 0xbe903f40, v104
	v_add_f32_e32 v108, v20, v108
	v_fma_f32 v134, v23, s15, -v71
	v_mul_f32_e32 v105, 0x3e903f40, v105
	v_add_f32_e32 v31, v31, v30
	v_add_f32_e32 v30, v20, v145
	v_fmac_f32_e32 v146, 0xbe11bafb, v23
	v_add_f32_e32 v21, v21, v26
	v_fma_f32 v26, v27, s15, -v133
	v_add_f32_e32 v20, v20, v70
	v_fmac_f32_e32 v71, 0xbf27a4f4, v23
	v_fma_f32 v149, v24, s16, -v148
	v_add_f32_e32 v108, v134, v108
	v_fma_f32 v134, v25, s16, -v105
	v_mul_f32_e32 v104, 0x3f7d64f0, v104
	v_add_f32_e32 v30, v146, v30
	v_fmac_f32_e32 v147, 0x3f575c64, v25
	v_add_f32_e32 v21, v26, v21
	v_fma_f32 v26, v28, s16, -v132
	v_add_f32_e32 v20, v71, v20
	v_fmac_f32_e32 v105, 0xbf75a155, v25
	v_mul_u32_u24_e32 v22, 44, v98
	v_add_f32_e32 v119, v149, v119
	v_mul_f32_e32 v149, 0x3f68dda4, v113
	v_add_f32_e32 v108, v134, v108
	v_fma_f32 v134, v24, s14, -v104
	v_mul_f32_e32 v113, 0x3f0a6770, v113
	v_add_f32_e32 v30, v147, v30
	v_fmac_f32_e32 v148, 0xbf75a155, v24
	v_add_f32_e32 v21, v26, v21
	v_fma_f32 v26, v29, s14, -v111
	v_add_f32_e32 v20, v105, v20
	v_fmac_f32_e32 v104, 0xbe11bafb, v24
	v_or_b32_e32 v22, v22, v97
	v_fma_f32 v150, v36, s13, -v149
	v_add_f32_e32 v108, v134, v108
	v_fma_f32 v134, v36, s12, -v113
	v_add_f32_e32 v30, v148, v30
	v_fmac_f32_e32 v149, 0x3ed4b147, v36
	v_add_f32_e32 v21, v26, v21
	v_fma_f32 v26, v37, s12, -v114
	v_add_f32_e32 v20, v104, v20
	v_fmac_f32_e32 v113, 0x3f575c64, v36
	v_lshlrev_b32_e32 v22, 3, v22
	v_add_f32_e32 v119, v150, v119
	v_add_f32_e32 v108, v134, v108
	;; [unrolled: 1-line block ×5, first 2 shown]
	ds_write2_b64 v22, v[38:39], v[67:68] offset1:4
	ds_write2_b64 v22, v[108:109], v[121:122] offset0:8 offset1:12
	ds_write2_b64 v22, v[119:120], v[117:118] offset0:16 offset1:20
	;; [unrolled: 1-line block ×4, first 2 shown]
	ds_write_b64 v22, v[93:94] offset:320
.LBB0_5:
	s_or_b64 exec, exec, s[6:7]
	s_movk_i32 s6, 0xbb
	v_mul_lo_u16_sdwa v20, v95, s6 dst_sel:DWORD dst_unused:UNUSED_PAD src0_sel:BYTE_0 src1_sel:DWORD
	v_lshrrev_b16_e32 v51, 13, v20
	v_mul_lo_u16_e32 v20, 44, v51
	v_sub_u16_e32 v20, v95, v20
	v_and_b32_e32 v69, 0xff, v20
	v_lshlrev_b32_e32 v28, 5, v69
	s_waitcnt lgkmcnt(0)
	s_barrier
	global_load_dwordx4 v[24:27], v28, s[2:3] offset:336
	global_load_dwordx4 v[20:23], v28, s[2:3] offset:352
	v_mul_lo_u16_sdwa v28, v42, s6 dst_sel:DWORD dst_unused:UNUSED_PAD src0_sel:BYTE_0 src1_sel:DWORD
	v_lshrrev_b16_e32 v70, 13, v28
	v_mul_lo_u16_e32 v28, 44, v70
	v_sub_u16_e32 v28, v42, v28
	v_and_b32_e32 v71, 0xff, v28
	v_lshlrev_b32_e32 v36, 5, v71
	global_load_dwordx4 v[32:35], v36, s[2:3] offset:336
	global_load_dwordx4 v[28:31], v36, s[2:3] offset:352
	v_add_u32_e32 v107, 0x400, v96
	v_add_u32_e32 v60, 0xc00, v96
	ds_read2_b64 v[43:46], v107 offset0:92 offset1:202
	ds_read2_b64 v[36:39], v96 offset1:110
	v_add_u32_e32 v59, 0x1400, v96
	v_add_u32_e32 v106, 0x1800, v96
	ds_read2_b64 v[47:50], v60 offset0:56 offset1:166
	ds_read2_b64 v[61:64], v59 offset0:20 offset1:130
	;; [unrolled: 1-line block ×3, first 2 shown]
	v_mul_u32_u24_e32 v51, 0xdc, v51
	s_waitcnt vmcnt(0) lgkmcnt(0)
	s_barrier
	v_mul_f32_e32 v40, v44, v25
	v_mul_f32_e32 v41, v48, v27
	;; [unrolled: 1-line block ×6, first 2 shown]
	v_fma_f32 v120, v43, v24, -v40
	v_fma_f32 v121, v47, v26, -v41
	;; [unrolled: 1-line block ×3, first 2 shown]
	v_mul_f32_e32 v111, v65, v23
	v_mul_f32_e32 v112, v46, v33
	;; [unrolled: 1-line block ×3, first 2 shown]
	v_fmac_f32_e32 v104, v44, v24
	v_fma_f32 v44, v65, v22, -v110
	v_add_f32_e32 v40, v36, v120
	v_add_f32_e32 v41, v121, v61
	v_mul_f32_e32 v105, v47, v27
	v_mul_f32_e32 v113, v45, v33
	;; [unrolled: 1-line block ×3, first 2 shown]
	v_fmac_f32_e32 v111, v66, v22
	v_fma_f32 v66, v45, v32, -v112
	v_fma_f32 v110, v63, v28, -v116
	v_sub_f32_e32 v43, v120, v121
	v_sub_f32_e32 v45, v44, v61
	v_add_f32_e32 v63, v40, v121
	v_fma_f32 v40, -0.5, v41, v36
	v_mul_f32_e32 v114, v50, v35
	v_fmac_f32_e32 v105, v48, v26
	v_fmac_f32_e32 v109, v62, v20
	;; [unrolled: 1-line block ×3, first 2 shown]
	v_sub_f32_e32 v46, v104, v111
	v_add_f32_e32 v41, v43, v45
	v_mov_b32_e32 v43, v40
	v_mul_f32_e32 v115, v49, v35
	v_fma_f32 v108, v49, v34, -v114
	v_sub_f32_e32 v49, v105, v109
	v_add_f32_e32 v47, v120, v44
	v_fmac_f32_e32 v40, 0xbf737871, v46
	v_fmac_f32_e32 v43, 0x3f737871, v46
	v_fma_f32 v36, -0.5, v47, v36
	v_fmac_f32_e32 v40, 0xbf167918, v49
	v_fmac_f32_e32 v43, 0x3f167918, v49
	;; [unrolled: 1-line block ×3, first 2 shown]
	v_sub_f32_e32 v48, v121, v120
	v_sub_f32_e32 v50, v61, v44
	v_add_f32_e32 v62, v37, v104
	v_mov_b32_e32 v45, v36
	v_fmac_f32_e32 v40, 0x3e9e377a, v41
	v_fmac_f32_e32 v43, 0x3e9e377a, v41
	v_add_f32_e32 v41, v105, v109
	v_add_f32_e32 v50, v48, v50
	;; [unrolled: 1-line block ×4, first 2 shown]
	v_fmac_f32_e32 v36, 0x3f737871, v49
	v_fmac_f32_e32 v45, 0xbf737871, v49
	v_fma_f32 v41, -0.5, v41, v37
	v_add_f32_e32 v62, v47, v109
	v_add_f32_e32 v47, v48, v44
	v_fmac_f32_e32 v36, 0xbf167918, v46
	v_fmac_f32_e32 v45, 0x3f167918, v46
	v_sub_f32_e32 v49, v120, v44
	v_mov_b32_e32 v44, v41
	v_fmac_f32_e32 v36, 0x3e9e377a, v50
	v_fmac_f32_e32 v45, 0x3e9e377a, v50
	;; [unrolled: 1-line block ×3, first 2 shown]
	v_sub_f32_e32 v50, v121, v61
	v_sub_f32_e32 v46, v104, v105
	;; [unrolled: 1-line block ×3, first 2 shown]
	v_fmac_f32_e32 v41, 0x3f737871, v49
	v_fmac_f32_e32 v44, 0xbf167918, v50
	v_add_f32_e32 v46, v46, v61
	v_fmac_f32_e32 v41, 0x3f167918, v50
	v_fmac_f32_e32 v44, 0x3e9e377a, v46
	;; [unrolled: 1-line block ×3, first 2 shown]
	v_add_f32_e32 v46, v104, v111
	v_fma_f32 v37, -0.5, v46, v37
	v_mov_b32_e32 v46, v37
	v_add_f32_e32 v48, v62, v111
	v_fmac_f32_e32 v46, 0x3f737871, v50
	v_sub_f32_e32 v61, v105, v104
	v_sub_f32_e32 v62, v109, v111
	v_fmac_f32_e32 v37, 0xbf737871, v50
	v_mul_f32_e32 v119, v67, v31
	v_fmac_f32_e32 v46, 0xbf167918, v49
	v_add_f32_e32 v61, v61, v62
	v_fmac_f32_e32 v37, 0x3f167918, v49
	v_add_f32_e32 v50, v108, v110
	v_mul_f32_e32 v118, v68, v31
	v_fmac_f32_e32 v119, v68, v30
	v_fmac_f32_e32 v46, 0x3e9e377a, v61
	;; [unrolled: 1-line block ×3, first 2 shown]
	v_fma_f32 v61, -0.5, v50, v38
	v_fmac_f32_e32 v117, v64, v28
	v_fma_f32 v64, v67, v30, -v118
	v_sub_f32_e32 v50, v113, v119
	v_mov_b32_e32 v63, v61
	v_fmac_f32_e32 v63, 0x3f737871, v50
	v_sub_f32_e32 v62, v115, v117
	v_sub_f32_e32 v65, v66, v108
	;; [unrolled: 1-line block ×3, first 2 shown]
	v_fmac_f32_e32 v61, 0xbf737871, v50
	v_fmac_f32_e32 v63, 0x3f167918, v62
	v_add_f32_e32 v65, v65, v67
	v_fmac_f32_e32 v61, 0xbf167918, v62
	v_fmac_f32_e32 v63, 0x3e9e377a, v65
	v_fmac_f32_e32 v61, 0x3e9e377a, v65
	v_add_f32_e32 v65, v66, v64
	v_add_f32_e32 v49, v38, v66
	v_fma_f32 v38, -0.5, v65, v38
	v_mov_b32_e32 v65, v38
	v_add_f32_e32 v49, v49, v108
	v_fmac_f32_e32 v65, 0xbf737871, v62
	v_sub_f32_e32 v67, v108, v66
	v_sub_f32_e32 v68, v110, v64
	v_fmac_f32_e32 v38, 0x3f737871, v62
	v_add_f32_e32 v62, v115, v117
	v_add_f32_e32 v49, v49, v110
	v_fmac_f32_e32 v65, 0x3f167918, v50
	v_add_f32_e32 v67, v67, v68
	v_fmac_f32_e32 v38, 0xbf167918, v50
	v_fma_f32 v62, -0.5, v62, v39
	v_add_f32_e32 v49, v49, v64
	v_fmac_f32_e32 v65, 0x3e9e377a, v67
	v_fmac_f32_e32 v38, 0x3e9e377a, v67
	v_sub_f32_e32 v67, v66, v64
	v_mov_b32_e32 v64, v62
	v_fmac_f32_e32 v64, 0xbf737871, v67
	v_sub_f32_e32 v68, v108, v110
	v_sub_f32_e32 v66, v113, v115
	;; [unrolled: 1-line block ×3, first 2 shown]
	v_fmac_f32_e32 v62, 0x3f737871, v67
	v_fmac_f32_e32 v64, 0xbf167918, v68
	v_add_f32_e32 v66, v66, v104
	v_fmac_f32_e32 v62, 0x3f167918, v68
	v_fmac_f32_e32 v64, 0x3e9e377a, v66
	;; [unrolled: 1-line block ×3, first 2 shown]
	v_add_f32_e32 v66, v113, v119
	v_add_f32_e32 v50, v39, v113
	v_fmac_f32_e32 v39, -0.5, v66
	v_mov_b32_e32 v66, v39
	v_fmac_f32_e32 v66, 0x3f737871, v68
	v_sub_f32_e32 v104, v115, v113
	v_sub_f32_e32 v105, v117, v119
	v_fmac_f32_e32 v39, 0xbf737871, v68
	v_fmac_f32_e32 v66, 0xbf167918, v67
	v_add_f32_e32 v104, v104, v105
	v_fmac_f32_e32 v39, 0x3f167918, v67
	v_add_f32_e32 v50, v50, v115
	v_fmac_f32_e32 v66, 0x3e9e377a, v104
	v_fmac_f32_e32 v39, 0x3e9e377a, v104
	v_add_lshl_u32 v104, v51, v69, 3
	v_add_f32_e32 v50, v50, v117
	ds_write2_b64 v104, v[47:48], v[43:44] offset1:44
	ds_write2_b64 v104, v[45:46], v[36:37] offset0:88 offset1:132
	ds_write_b64 v104, v[40:41] offset:1408
	v_mul_u32_u24_e32 v36, 0xdc, v70
	v_add_f32_e32 v50, v50, v119
	v_add_lshl_u32 v105, v36, v71, 3
	v_lshlrev_b32_e32 v40, 5, v95
	ds_write2_b64 v105, v[49:50], v[63:64] offset1:44
	ds_write2_b64 v105, v[65:66], v[38:39] offset0:88 offset1:132
	ds_write_b64 v105, v[61:62] offset:1408
	s_waitcnt lgkmcnt(0)
	s_barrier
	global_load_dwordx4 v[44:47], v40, s[2:3] offset:1744
	global_load_dwordx4 v[36:39], v40, s[2:3] offset:1760
	v_lshlrev_b32_e32 v61, 5, v42
	global_load_dwordx4 v[48:51], v61, s[2:3] offset:1744
	global_load_dwordx4 v[40:43], v61, s[2:3] offset:1760
	v_lshlrev_b32_e32 v61, 3, v95
	v_mov_b32_e32 v62, s1
	v_add_co_u32_e64 v71, s[0:1], s0, v61
	v_addc_co_u32_e64 v122, s[0:1], 0, v62, s[0:1]
	ds_read2_b64 v[61:64], v107 offset0:92 offset1:202
	ds_read2_b64 v[65:68], v96 offset1:110
	ds_read2_b64 v[108:111], v60 offset0:56 offset1:166
	ds_read2_b64 v[112:115], v59 offset0:20 offset1:130
	;; [unrolled: 1-line block ×3, first 2 shown]
	s_movk_i32 s0, 0x2000
	s_movk_i32 s2, 0x2260
	s_waitcnt vmcnt(3) lgkmcnt(4)
	v_mul_f32_e32 v69, v62, v45
	v_fma_f32 v70, v61, v44, -v69
	v_mul_f32_e32 v120, v61, v45
	s_waitcnt lgkmcnt(2)
	v_mul_f32_e32 v61, v109, v47
	v_fma_f32 v121, v108, v46, -v61
	v_mul_f32_e32 v123, v108, v47
	s_waitcnt vmcnt(2) lgkmcnt(1)
	v_mul_f32_e32 v61, v113, v37
	v_fmac_f32_e32 v123, v109, v46
	v_fma_f32 v109, v112, v36, -v61
	v_mul_f32_e32 v112, v112, v37
	s_waitcnt lgkmcnt(0)
	v_mul_f32_e32 v61, v117, v39
	v_fmac_f32_e32 v120, v62, v44
	v_fmac_f32_e32 v112, v113, v36
	v_fma_f32 v113, v116, v38, -v61
	v_mul_f32_e32 v116, v116, v39
	s_waitcnt vmcnt(1)
	v_mul_f32_e32 v61, v64, v49
	v_add_f32_e32 v62, v121, v109
	v_fmac_f32_e32 v116, v117, v38
	v_fma_f32 v117, v63, v48, -v61
	v_mul_f32_e32 v124, v63, v49
	v_fma_f32 v63, -0.5, v62, v65
	v_mul_f32_e32 v61, v111, v51
	v_sub_f32_e32 v62, v120, v116
	v_mov_b32_e32 v69, v63
	v_fmac_f32_e32 v124, v64, v48
	v_fma_f32 v125, v110, v50, -v61
	v_mul_f32_e32 v126, v110, v51
	v_fmac_f32_e32 v69, 0x3f737871, v62
	v_sub_f32_e32 v64, v123, v112
	v_sub_f32_e32 v108, v70, v121
	;; [unrolled: 1-line block ×3, first 2 shown]
	v_fmac_f32_e32 v63, 0xbf737871, v62
	s_waitcnt vmcnt(0)
	v_mul_f32_e32 v61, v115, v41
	v_fmac_f32_e32 v69, 0x3f167918, v64
	v_add_f32_e32 v108, v108, v110
	v_fmac_f32_e32 v63, 0xbf167918, v64
	v_fma_f32 v127, v114, v40, -v61
	v_mul_f32_e32 v128, v114, v41
	v_mul_f32_e32 v61, v119, v43
	v_fmac_f32_e32 v69, 0x3e9e377a, v108
	v_fmac_f32_e32 v63, 0x3e9e377a, v108
	v_add_f32_e32 v108, v70, v113
	v_fmac_f32_e32 v128, v115, v40
	v_fma_f32 v115, v118, v42, -v61
	v_add_f32_e32 v61, v65, v70
	v_fma_f32 v65, -0.5, v108, v65
	v_mov_b32_e32 v108, v65
	v_fmac_f32_e32 v126, v111, v50
	v_fmac_f32_e32 v108, 0xbf737871, v64
	v_sub_f32_e32 v110, v121, v70
	v_sub_f32_e32 v111, v109, v113
	v_fmac_f32_e32 v65, 0x3f737871, v64
	v_add_f32_e32 v64, v123, v112
	v_add_f32_e32 v61, v61, v121
	v_fmac_f32_e32 v108, 0x3f167918, v62
	v_add_f32_e32 v110, v110, v111
	v_fmac_f32_e32 v65, 0xbf167918, v62
	v_fma_f32 v64, -0.5, v64, v66
	v_add_f32_e32 v61, v61, v109
	v_fmac_f32_e32 v108, 0x3e9e377a, v110
	v_fmac_f32_e32 v65, 0x3e9e377a, v110
	v_sub_f32_e32 v110, v70, v113
	v_mov_b32_e32 v70, v64
	v_add_f32_e32 v61, v61, v113
	v_fmac_f32_e32 v70, 0xbf737871, v110
	v_sub_f32_e32 v111, v121, v109
	v_sub_f32_e32 v109, v120, v123
	;; [unrolled: 1-line block ×3, first 2 shown]
	v_fmac_f32_e32 v64, 0x3f737871, v110
	v_fmac_f32_e32 v70, 0xbf167918, v111
	v_add_f32_e32 v109, v109, v113
	v_fmac_f32_e32 v64, 0x3f167918, v111
	v_fmac_f32_e32 v70, 0x3e9e377a, v109
	;; [unrolled: 1-line block ×3, first 2 shown]
	v_add_f32_e32 v109, v120, v116
	v_add_f32_e32 v62, v66, v120
	v_fma_f32 v66, -0.5, v109, v66
	v_add_f32_e32 v62, v62, v123
	v_mov_b32_e32 v109, v66
	v_add_f32_e32 v62, v62, v112
	v_fmac_f32_e32 v109, 0x3f737871, v111
	v_sub_f32_e32 v113, v123, v120
	v_sub_f32_e32 v112, v112, v116
	v_fmac_f32_e32 v66, 0xbf737871, v111
	v_mul_f32_e32 v118, v118, v43
	v_fmac_f32_e32 v109, 0xbf167918, v110
	v_add_f32_e32 v112, v113, v112
	v_fmac_f32_e32 v66, 0x3f167918, v110
	v_add_f32_e32 v111, v125, v127
	v_fmac_f32_e32 v118, v119, v42
	v_fmac_f32_e32 v109, 0x3e9e377a, v112
	;; [unrolled: 1-line block ×3, first 2 shown]
	v_fma_f32 v112, -0.5, v111, v67
	v_sub_f32_e32 v111, v124, v118
	v_mov_b32_e32 v114, v112
	v_add_f32_e32 v62, v62, v116
	v_fmac_f32_e32 v114, 0x3f737871, v111
	v_sub_f32_e32 v113, v126, v128
	v_sub_f32_e32 v116, v117, v125
	v_sub_f32_e32 v119, v115, v127
	v_fmac_f32_e32 v112, 0xbf737871, v111
	v_fmac_f32_e32 v114, 0x3f167918, v113
	v_add_f32_e32 v116, v116, v119
	v_fmac_f32_e32 v112, 0xbf167918, v113
	v_fmac_f32_e32 v114, 0x3e9e377a, v116
	;; [unrolled: 1-line block ×3, first 2 shown]
	v_add_f32_e32 v116, v117, v115
	v_add_f32_e32 v110, v67, v117
	v_fma_f32 v67, -0.5, v116, v67
	v_mov_b32_e32 v116, v67
	v_add_f32_e32 v110, v110, v125
	v_fmac_f32_e32 v116, 0xbf737871, v113
	v_sub_f32_e32 v119, v125, v117
	v_sub_f32_e32 v120, v127, v115
	v_fmac_f32_e32 v67, 0x3f737871, v113
	v_add_f32_e32 v113, v126, v128
	v_add_f32_e32 v110, v110, v127
	v_fmac_f32_e32 v116, 0x3f167918, v111
	v_add_f32_e32 v119, v119, v120
	v_fmac_f32_e32 v67, 0xbf167918, v111
	v_fma_f32 v113, -0.5, v113, v68
	v_add_f32_e32 v110, v110, v115
	v_fmac_f32_e32 v116, 0x3e9e377a, v119
	v_fmac_f32_e32 v67, 0x3e9e377a, v119
	v_sub_f32_e32 v119, v117, v115
	v_mov_b32_e32 v115, v113
	v_fmac_f32_e32 v115, 0xbf737871, v119
	v_sub_f32_e32 v120, v125, v127
	v_sub_f32_e32 v117, v124, v126
	;; [unrolled: 1-line block ×3, first 2 shown]
	v_fmac_f32_e32 v113, 0x3f737871, v119
	v_fmac_f32_e32 v115, 0xbf167918, v120
	v_add_f32_e32 v117, v117, v121
	v_fmac_f32_e32 v113, 0x3f167918, v120
	v_add_f32_e32 v111, v68, v124
	v_fmac_f32_e32 v115, 0x3e9e377a, v117
	v_fmac_f32_e32 v113, 0x3e9e377a, v117
	v_add_f32_e32 v117, v124, v118
	v_add_f32_e32 v111, v111, v126
	v_fmac_f32_e32 v68, -0.5, v117
	v_add_f32_e32 v111, v111, v128
	v_mov_b32_e32 v117, v68
	v_add_f32_e32 v111, v111, v118
	v_fmac_f32_e32 v117, 0x3f737871, v120
	v_sub_f32_e32 v121, v126, v124
	v_sub_f32_e32 v118, v128, v118
	v_fmac_f32_e32 v68, 0xbf737871, v120
	v_fmac_f32_e32 v117, 0xbf167918, v119
	v_add_f32_e32 v118, v121, v118
	v_fmac_f32_e32 v68, 0x3f167918, v119
	v_fmac_f32_e32 v117, 0x3e9e377a, v118
	;; [unrolled: 1-line block ×3, first 2 shown]
	ds_write_b64 v96, v[69:70] offset:1760
	ds_write_b64 v96, v[108:109] offset:3520
	;; [unrolled: 1-line block ×4, first 2 shown]
	ds_write2_b64 v96, v[61:62], v[110:111] offset1:110
	ds_write_b64 v96, v[114:115] offset:2640
	ds_write_b64 v96, v[116:117] offset:4400
	;; [unrolled: 1-line block ×4, first 2 shown]
	v_add_co_u32_e64 v61, s[0:1], s0, v71
	v_addc_co_u32_e64 v62, s[0:1], 0, v122, s[0:1]
	s_waitcnt lgkmcnt(0)
	s_barrier
	global_load_dwordx2 v[65:66], v[61:62], off offset:608
	s_movk_i32 s0, 0x3000
	v_add_co_u32_e64 v61, s[0:1], s0, v71
	v_addc_co_u32_e64 v62, s[0:1], 0, v122, s[0:1]
	global_load_dwordx2 v[69:70], v[61:62], off offset:912
	v_add_co_u32_e64 v63, s[0:1], s2, v71
	v_addc_co_u32_e64 v64, s[0:1], 0, v122, s[0:1]
	global_load_dwordx2 v[108:109], v[63:64], off offset:880
	global_load_dwordx2 v[110:111], v[61:62], off offset:1792
	;; [unrolled: 1-line block ×7, first 2 shown]
	s_movk_i32 s0, 0x4000
	v_add_co_u32_e64 v61, s[0:1], s0, v71
	v_addc_co_u32_e64 v62, s[0:1], 0, v122, s[0:1]
	global_load_dwordx2 v[122:123], v[61:62], off offset:336
	ds_read2_b64 v[61:64], v96 offset1:110
	s_waitcnt vmcnt(9) lgkmcnt(0)
	v_mul_f32_e32 v67, v62, v66
	v_mul_f32_e32 v68, v61, v66
	v_fma_f32 v67, v61, v65, -v67
	v_fmac_f32_e32 v68, v62, v65
	ds_write_b64 v96, v[67:68]
	ds_read2_b64 v[65:68], v60 offset0:56 offset1:166
	s_waitcnt vmcnt(7)
	v_mul_f32_e32 v127, v63, v109
	v_fmac_f32_e32 v127, v64, v108
	s_waitcnt lgkmcnt(0)
	v_mul_f32_e32 v61, v68, v70
	v_mul_f32_e32 v125, v67, v70
	v_fma_f32 v124, v67, v69, -v61
	v_fmac_f32_e32 v125, v68, v69
	ds_read2_b64 v[67:70], v59 offset0:20 offset1:130
	v_mul_f32_e32 v61, v64, v109
	v_fma_f32 v126, v63, v108, -v61
	v_add_u32_e32 v109, 0x800, v96
	v_add_u32_e32 v108, 0x1000, v96
	s_waitcnt vmcnt(6) lgkmcnt(0)
	v_mul_f32_e32 v61, v68, v111
	v_fma_f32 v128, v67, v110, -v61
	ds_read2_b64 v[61:64], v107 offset0:92 offset1:202
	v_mul_f32_e32 v129, v67, v111
	v_fmac_f32_e32 v129, v68, v110
	ds_write2_b64 v108, v[124:125], v[128:129] offset0:38 offset1:148
	s_waitcnt vmcnt(5) lgkmcnt(1)
	v_mul_f32_e32 v67, v62, v113
	v_mul_f32_e32 v68, v61, v113
	v_fma_f32 v67, v61, v112, -v67
	v_fmac_f32_e32 v68, v62, v112
	s_waitcnt vmcnt(4)
	v_mul_f32_e32 v61, v70, v115
	v_mul_f32_e32 v62, v69, v115
	ds_write2_b64 v96, v[126:127], v[67:68] offset0:110 offset1:220
	v_fma_f32 v61, v69, v114, -v61
	v_fmac_f32_e32 v62, v70, v114
	ds_read2_b64 v[67:70], v106 offset0:112 offset1:222
	s_waitcnt vmcnt(3)
	v_mul_f32_e32 v71, v64, v117
	v_mul_f32_e32 v111, v63, v117
	v_fma_f32 v110, v63, v116, -v71
	v_fmac_f32_e32 v111, v64, v116
	s_waitcnt vmcnt(2) lgkmcnt(0)
	v_mul_f32_e32 v63, v68, v119
	v_mul_f32_e32 v64, v67, v119
	v_fma_f32 v63, v67, v118, -v63
	v_fmac_f32_e32 v64, v68, v118
	ds_write2_b64 v106, v[61:62], v[63:64] offset0:2 offset1:112
	s_waitcnt vmcnt(1)
	v_mul_f32_e32 v61, v66, v121
	v_mul_f32_e32 v62, v65, v121
	v_fma_f32 v61, v65, v120, -v61
	v_fmac_f32_e32 v62, v66, v120
	ds_write2_b64 v109, v[110:111], v[61:62] offset0:74 offset1:184
	s_waitcnt vmcnt(0)
	v_mul_f32_e32 v61, v70, v123
	v_mul_f32_e32 v62, v69, v123
	v_fma_f32 v61, v69, v122, -v61
	v_fmac_f32_e32 v62, v70, v122
	ds_write_b64 v96, v[61:62] offset:7920
	s_waitcnt lgkmcnt(0)
	s_barrier
	ds_read2_b64 v[61:64], v96 offset1:110
	ds_read2_b64 v[65:68], v60 offset0:56 offset1:166
	ds_read2_b64 v[110:113], v59 offset0:20 offset1:130
	;; [unrolled: 1-line block ×4, first 2 shown]
	s_waitcnt lgkmcnt(0)
	v_sub_f32_e32 v69, v61, v67
	v_sub_f32_e32 v124, v63, v110
	;; [unrolled: 1-line block ×4, first 2 shown]
	v_fma_f32 v122, v63, 2.0, -v124
	v_fma_f32 v123, v64, 2.0, -v125
	v_sub_f32_e32 v63, v114, v112
	v_sub_f32_e32 v64, v115, v113
	;; [unrolled: 1-line block ×4, first 2 shown]
	v_fma_f32 v67, v61, 2.0, -v69
	v_fma_f32 v68, v62, 2.0, -v70
	;; [unrolled: 1-line block ×6, first 2 shown]
	v_sub_f32_e32 v116, v65, v120
	v_sub_f32_e32 v117, v66, v121
	v_fma_f32 v114, v65, 2.0, -v116
	v_fma_f32 v115, v66, 2.0, -v117
	s_barrier
	ds_write_b128 v54, v[67:70]
	ds_write_b128 v55, v[122:125]
	;; [unrolled: 1-line block ×5, first 2 shown]
	s_waitcnt lgkmcnt(0)
	s_barrier
	ds_read2_b64 v[68:71], v60 offset0:56 offset1:166
	ds_read2_b64 v[60:63], v96 offset1:110
	ds_read2_b64 v[54:57], v59 offset0:20 offset1:130
	ds_read2_b64 v[110:113], v107 offset0:92 offset1:202
	;; [unrolled: 1-line block ×3, first 2 shown]
	s_waitcnt lgkmcnt(4)
	v_mul_f32_e32 v58, v53, v71
	v_fmac_f32_e32 v58, v52, v70
	v_mul_f32_e32 v59, v53, v70
	s_waitcnt lgkmcnt(2)
	v_mul_f32_e32 v70, v53, v55
	v_fmac_f32_e32 v70, v52, v54
	v_mul_f32_e32 v54, v53, v54
	v_fma_f32 v59, v52, v71, -v59
	v_fma_f32 v71, v52, v55, -v54
	v_mul_f32_e32 v114, v53, v57
	v_mul_f32_e32 v54, v53, v56
	v_fmac_f32_e32 v114, v52, v56
	v_fma_f32 v56, v52, v57, -v54
	s_waitcnt lgkmcnt(0)
	v_mul_f32_e32 v115, v53, v65
	v_mul_f32_e32 v54, v53, v64
	;; [unrolled: 1-line block ×4, first 2 shown]
	v_fmac_f32_e32 v115, v52, v64
	v_fma_f32 v116, v52, v65, -v54
	v_fmac_f32_e32 v117, v52, v66
	v_fma_f32 v118, v52, v67, -v53
	v_sub_f32_e32 v66, v62, v70
	v_sub_f32_e32 v67, v63, v71
	;; [unrolled: 1-line block ×4, first 2 shown]
	v_fma_f32 v64, v62, 2.0, -v66
	v_fma_f32 v65, v63, 2.0, -v67
	v_sub_f32_e32 v58, v110, v114
	v_sub_f32_e32 v59, v111, v56
	v_sub_f32_e32 v62, v112, v115
	v_sub_f32_e32 v63, v113, v116
	v_sub_f32_e32 v70, v68, v117
	v_sub_f32_e32 v71, v69, v118
	v_fma_f32 v52, v60, 2.0, -v54
	v_fma_f32 v53, v61, 2.0, -v55
	;; [unrolled: 1-line block ×8, first 2 shown]
	s_barrier
	ds_write2_b64 v99, v[52:53], v[54:55] offset1:2
	ds_write2_b64 v100, v[64:65], v[66:67] offset1:2
	;; [unrolled: 1-line block ×5, first 2 shown]
	s_waitcnt lgkmcnt(0)
	s_barrier
	s_and_saveexec_b64 s[0:1], vcc
	s_cbranch_execz .LBB0_7
; %bb.6:
	ds_read2_b64 v[52:55], v96 offset1:100
	ds_read2_b64 v[64:67], v107 offset0:72 offset1:172
	ds_read2_b64 v[56:59], v109 offset0:144 offset1:244
	;; [unrolled: 1-line block ×4, first 2 shown]
	ds_read_b64 v[93:94], v96 offset:8000
.LBB0_7:
	s_or_b64 exec, exec, s[0:1]
	s_waitcnt lgkmcnt(0)
	s_barrier
	s_and_saveexec_b64 s[0:1], vcc
	s_cbranch_execz .LBB0_9
; %bb.8:
	v_mul_f32_e32 v99, v13, v55
	v_mul_f32_e32 v100, v19, v94
	;; [unrolled: 1-line block ×4, first 2 shown]
	v_fmac_f32_e32 v99, v12, v54
	v_fmac_f32_e32 v100, v18, v93
	v_fma_f32 v18, v18, v94, -v19
	v_fma_f32 v19, v12, v55, -v13
	v_mul_f32_e32 v54, v15, v65
	v_mul_f32_e32 v55, v17, v71
	v_sub_f32_e32 v101, v99, v100
	v_fmac_f32_e32 v54, v14, v64
	v_fmac_f32_e32 v55, v16, v70
	v_mul_f32_e32 v102, 0xbf7d64f0, v101
	v_sub_f32_e32 v93, v54, v55
	v_mul_f32_e32 v17, v17, v70
	v_mul_f32_e32 v15, v15, v64
	v_add_f32_e32 v12, v18, v19
	v_mov_b32_e32 v13, v102
	v_mul_f32_e32 v94, 0x3e903f40, v93
	v_fma_f32 v16, v16, v71, -v17
	v_fma_f32 v14, v14, v65, -v15
	v_fmac_f32_e32 v13, 0xbe11bafb, v12
	v_add_f32_e32 v15, v16, v14
	v_mov_b32_e32 v17, v94
	v_add_f32_e32 v13, v53, v13
	v_fmac_f32_e32 v17, 0xbf75a155, v15
	v_add_f32_e32 v13, v17, v13
	v_mul_f32_e32 v17, v5, v67
	v_mul_f32_e32 v64, v11, v69
	v_mul_f32_e32 v5, v5, v66
	v_fmac_f32_e32 v17, v4, v66
	v_fmac_f32_e32 v64, v10, v68
	v_mul_f32_e32 v11, v11, v68
	v_fma_f32 v66, v4, v67, -v5
	v_mul_f32_e32 v71, v9, v63
	v_mul_f32_e32 v5, v9, v62
	v_sub_f32_e32 v65, v17, v64
	v_fma_f32 v68, v10, v69, -v11
	v_mul_f32_e32 v69, v7, v57
	v_fmac_f32_e32 v71, v8, v62
	v_fma_f32 v62, v8, v63, -v5
	v_mul_f32_e32 v5, v7, v56
	v_mul_f32_e32 v70, 0x3f68dda4, v65
	v_fmac_f32_e32 v69, v6, v56
	v_fma_f32 v56, v6, v57, -v5
	v_mul_f32_e32 v57, v1, v59
	v_mul_f32_e32 v63, v3, v61
	v_add_f32_e32 v67, v68, v66
	v_mov_b32_e32 v4, v70
	v_sub_f32_e32 v103, v69, v71
	v_fmac_f32_e32 v57, v0, v58
	v_fmac_f32_e32 v63, v2, v60
	v_fmac_f32_e32 v4, 0x3ed4b147, v67
	v_mul_f32_e32 v10, 0xbf0a6770, v103
	v_sub_f32_e32 v106, v57, v63
	v_mul_f32_e32 v3, v3, v60
	v_mul_f32_e32 v1, v1, v58
	v_add_f32_e32 v4, v4, v13
	v_add_f32_e32 v13, v62, v56
	v_mov_b32_e32 v5, v10
	v_mul_f32_e32 v8, 0xbf4178ce, v106
	v_fma_f32 v60, v2, v61, -v3
	v_fma_f32 v58, v0, v59, -v1
	v_fmac_f32_e32 v5, 0x3f575c64, v13
	v_add_f32_e32 v59, v60, v58
	v_mov_b32_e32 v0, v8
	v_sub_f32_e32 v107, v19, v18
	s_mov_b32 s2, 0xbe11bafb
	v_add_f32_e32 v4, v5, v4
	v_fmac_f32_e32 v0, 0xbf27a4f4, v59
	v_add_f32_e32 v61, v100, v99
	v_mul_f32_e32 v11, 0xbf7d64f0, v107
	v_sub_f32_e32 v109, v14, v16
	s_mov_b32 s3, 0xbf75a155
	v_add_f32_e32 v1, v0, v4
	v_fma_f32 v0, v61, s2, -v11
	v_add_f32_e32 v108, v55, v54
	v_mul_f32_e32 v110, 0x3e903f40, v109
	v_sub_f32_e32 v112, v66, v68
	s_mov_b32 s6, 0x3ed4b147
	v_add_f32_e32 v0, v52, v0
	v_fma_f32 v2, v108, s3, -v110
	;; [unrolled: 6-line block ×4, first 2 shown]
	v_add_f32_e32 v117, v63, v57
	v_mul_f32_e32 v119, 0xbf4178ce, v118
	v_add_f32_e32 v0, v2, v0
	v_fma_f32 v2, v117, s12, -v119
	v_mul_f32_e32 v4, 0xbe903f40, v101
	v_add_f32_e32 v0, v2, v0
	v_mov_b32_e32 v2, v4
	v_mul_f32_e32 v5, 0x3f0a6770, v93
	v_fmac_f32_e32 v2, 0xbf75a155, v12
	v_mov_b32_e32 v3, v5
	v_add_f32_e32 v2, v53, v2
	v_fmac_f32_e32 v3, 0x3f575c64, v15
	v_mul_f32_e32 v6, 0xbf4178ce, v65
	v_add_f32_e32 v2, v3, v2
	v_mov_b32_e32 v3, v6
	v_fmac_f32_e32 v3, 0xbf27a4f4, v67
	v_mul_f32_e32 v7, 0x3f68dda4, v103
	v_add_f32_e32 v2, v3, v2
	v_mov_b32_e32 v3, v7
	v_fma_f32 v4, v12, s3, -v4
	v_fmac_f32_e32 v3, 0x3ed4b147, v13
	v_mul_f32_e32 v9, 0xbf7d64f0, v106
	v_add_f32_e32 v4, v53, v4
	v_fma_f32 v5, v15, s7, -v5
	v_add_f32_e32 v2, v3, v2
	v_mov_b32_e32 v3, v9
	v_add_f32_e32 v4, v5, v4
	v_fma_f32 v5, v67, s12, -v6
	v_fmac_f32_e32 v3, 0xbe11bafb, v59
	v_mul_f32_e32 v120, 0xbe903f40, v107
	v_add_f32_e32 v4, v5, v4
	v_fma_f32 v5, v13, s6, -v7
	v_add_f32_e32 v3, v3, v2
	v_fma_f32 v2, v61, s3, -v120
	v_mul_f32_e32 v121, 0x3f0a6770, v109
	v_add_f32_e32 v4, v5, v4
	v_fma_f32 v5, v59, s2, -v9
	v_fmac_f32_e32 v120, 0xbf75a155, v61
	v_add_f32_e32 v2, v52, v2
	v_fma_f32 v122, v108, s7, -v121
	v_add_f32_e32 v5, v5, v4
	v_add_f32_e32 v4, v52, v120
	v_fmac_f32_e32 v121, 0x3f575c64, v108
	v_mul_f32_e32 v120, 0xbf27a4f4, v12
	v_add_f32_e32 v2, v122, v2
	v_mul_f32_e32 v122, 0xbf4178ce, v112
	v_add_f32_e32 v4, v121, v4
	v_mov_b32_e32 v6, v120
	v_mul_f32_e32 v121, 0xbe11bafb, v15
	v_fma_f32 v123, v111, s12, -v122
	v_fmac_f32_e32 v122, 0xbf27a4f4, v111
	v_fmac_f32_e32 v6, 0x3f4178ce, v101
	v_mov_b32_e32 v7, v121
	v_add_f32_e32 v2, v123, v2
	v_mul_f32_e32 v123, 0x3f68dda4, v115
	v_add_f32_e32 v4, v122, v4
	v_add_f32_e32 v6, v53, v6
	v_fmac_f32_e32 v7, 0xbf7d64f0, v93
	v_mul_f32_e32 v122, 0x3f575c64, v67
	v_fma_f32 v124, v114, s6, -v123
	v_fmac_f32_e32 v123, 0x3ed4b147, v114
	v_add_f32_e32 v6, v7, v6
	v_mov_b32_e32 v7, v122
	v_add_f32_e32 v2, v124, v2
	v_mul_f32_e32 v124, 0xbf7d64f0, v118
	v_add_f32_e32 v4, v123, v4
	v_fmac_f32_e32 v7, 0x3f0a6770, v65
	v_mul_f32_e32 v123, 0xbf75a155, v13
	v_fma_f32 v125, v117, s2, -v124
	v_fmac_f32_e32 v124, 0xbe11bafb, v117
	v_add_f32_e32 v6, v7, v6
	v_mov_b32_e32 v7, v123
	v_add_f32_e32 v4, v124, v4
	v_fmac_f32_e32 v7, 0x3e903f40, v103
	v_mul_f32_e32 v124, 0x3ed4b147, v59
	v_add_f32_e32 v6, v7, v6
	v_mov_b32_e32 v7, v124
	v_add_f32_e32 v2, v125, v2
	v_fmac_f32_e32 v7, 0xbf68dda4, v106
	v_mul_f32_e32 v125, 0xbf4178ce, v107
	v_add_f32_e32 v7, v7, v6
	v_mov_b32_e32 v6, v125
	v_mul_f32_e32 v126, 0x3f7d64f0, v109
	v_fmac_f32_e32 v6, 0xbf27a4f4, v61
	v_mov_b32_e32 v9, v126
	v_add_f32_e32 v6, v52, v6
	v_fmac_f32_e32 v9, 0xbe11bafb, v108
	v_mul_f32_e32 v127, 0xbf0a6770, v112
	v_add_f32_e32 v6, v9, v6
	v_mov_b32_e32 v9, v127
	v_fmac_f32_e32 v9, 0x3f575c64, v111
	v_mul_f32_e32 v128, 0xbe903f40, v115
	v_add_f32_e32 v6, v9, v6
	v_mov_b32_e32 v9, v128
	;; [unrolled: 4-line block ×3, first 2 shown]
	v_fmac_f32_e32 v9, 0x3ed4b147, v117
	v_add_f32_e32 v6, v9, v6
	v_fma_f32 v9, v12, s2, -v102
	v_add_f32_e32 v9, v53, v9
	v_fma_f32 v94, v15, s3, -v94
	;; [unrolled: 2-line block ×4, first 2 shown]
	v_mul_f32_e32 v70, 0x3ed4b147, v12
	v_add_f32_e32 v9, v10, v9
	v_fma_f32 v8, v59, s12, -v8
	v_fmac_f32_e32 v11, 0xbe11bafb, v61
	v_mov_b32_e32 v10, v70
	v_mul_f32_e32 v94, 0xbf27a4f4, v15
	v_add_f32_e32 v9, v8, v9
	v_add_f32_e32 v8, v52, v11
	v_fmac_f32_e32 v10, 0x3f68dda4, v101
	v_mov_b32_e32 v11, v94
	v_add_f32_e32 v10, v53, v10
	v_fmac_f32_e32 v11, 0x3f4178ce, v93
	v_mul_f32_e32 v102, 0xbf75a155, v67
	v_fmac_f32_e32 v110, 0xbf75a155, v108
	v_add_f32_e32 v10, v11, v10
	v_mov_b32_e32 v11, v102
	v_add_f32_e32 v8, v110, v8
	v_fmac_f32_e32 v11, 0xbe903f40, v65
	v_mul_f32_e32 v110, 0xbe11bafb, v13
	v_fmac_f32_e32 v113, 0x3ed4b147, v111
	v_add_f32_e32 v10, v11, v10
	;; [unrolled: 6-line block ×3, first 2 shown]
	v_mov_b32_e32 v11, v113
	v_add_f32_e32 v8, v116, v8
	v_fmac_f32_e32 v119, 0xbf27a4f4, v117
	v_fmac_f32_e32 v11, 0xbf0a6770, v106
	v_mul_f32_e32 v116, 0xbf68dda4, v107
	v_add_f32_e32 v8, v119, v8
	v_add_f32_e32 v11, v11, v10
	v_mov_b32_e32 v10, v116
	v_mul_f32_e32 v119, 0xbf4178ce, v109
	v_fmac_f32_e32 v10, 0x3ed4b147, v61
	v_mov_b32_e32 v130, v119
	v_add_f32_e32 v10, v52, v10
	v_fmac_f32_e32 v130, 0xbf27a4f4, v108
	v_add_f32_e32 v10, v130, v10
	v_mul_f32_e32 v130, 0x3e903f40, v112
	v_mov_b32_e32 v131, v130
	v_fmac_f32_e32 v131, 0xbf75a155, v111
	v_add_f32_e32 v10, v131, v10
	v_mul_f32_e32 v131, 0x3f7d64f0, v115
	v_mov_b32_e32 v132, v131
	;; [unrolled: 4-line block ×4, first 2 shown]
	v_mul_f32_e32 v134, 0x3ed4b147, v15
	v_fmac_f32_e32 v12, 0x3f0a6770, v101
	v_mov_b32_e32 v15, v134
	v_add_f32_e32 v12, v53, v12
	v_fmac_f32_e32 v15, 0x3f68dda4, v93
	v_mul_f32_e32 v67, 0xbe11bafb, v67
	v_add_f32_e32 v12, v15, v12
	v_mov_b32_e32 v15, v67
	v_mul_f32_e32 v135, 0xbf27a4f4, v13
	v_fmac_f32_e32 v15, 0x3f7d64f0, v65
	v_mov_b32_e32 v13, v135
	v_add_f32_e32 v12, v15, v12
	v_fmac_f32_e32 v13, 0x3f4178ce, v103
	v_mul_f32_e32 v59, 0xbf75a155, v59
	v_add_f32_e32 v12, v13, v12
	v_mov_b32_e32 v13, v59
	v_fmac_f32_e32 v13, 0x3e903f40, v106
	v_mul_f32_e32 v107, 0xbf0a6770, v107
	v_add_f32_e32 v13, v13, v12
	v_mov_b32_e32 v12, v107
	v_mul_f32_e32 v109, 0xbf68dda4, v109
	v_fmac_f32_e32 v12, 0x3f575c64, v61
	v_mov_b32_e32 v15, v109
	v_add_f32_e32 v12, v52, v12
	v_fmac_f32_e32 v15, 0x3ed4b147, v108
	v_mul_f32_e32 v112, 0xbf7d64f0, v112
	v_add_f32_e32 v12, v15, v12
	v_mov_b32_e32 v15, v112
	v_fmac_f32_e32 v15, 0xbe11bafb, v111
	v_mul_f32_e32 v115, 0xbf4178ce, v115
	v_add_f32_e32 v12, v15, v12
	v_mov_b32_e32 v15, v115
	;; [unrolled: 4-line block ×3, first 2 shown]
	v_fmac_f32_e32 v15, 0xbf75a155, v117
	v_add_f32_e32 v12, v15, v12
	v_add_f32_e32 v15, v19, v53
	;; [unrolled: 1-line block ×9, first 2 shown]
	v_fmac_f32_e32 v120, 0xbf4178ce, v101
	v_add_f32_e32 v14, v16, v14
	v_add_f32_e32 v16, v53, v120
	v_fmac_f32_e32 v121, 0x3f7d64f0, v93
	v_add_f32_e32 v16, v121, v16
	v_fmac_f32_e32 v122, 0xbf0a6770, v65
	v_add_f32_e32 v15, v18, v14
	v_add_f32_e32 v14, v52, v99
	;; [unrolled: 1-line block ×3, first 2 shown]
	v_fmac_f32_e32 v123, 0xbe903f40, v103
	v_add_f32_e32 v14, v54, v14
	v_add_f32_e32 v16, v123, v16
	v_fmac_f32_e32 v124, 0x3f68dda4, v106
	v_add_f32_e32 v14, v17, v14
	v_add_f32_e32 v17, v124, v16
	v_fma_f32 v16, v61, s12, -v125
	v_add_f32_e32 v16, v52, v16
	v_fma_f32 v18, v108, s2, -v126
	;; [unrolled: 2-line block ×5, first 2 shown]
	v_fmac_f32_e32 v70, 0xbf68dda4, v101
	v_add_f32_e32 v16, v18, v16
	v_add_f32_e32 v18, v53, v70
	v_fmac_f32_e32 v94, 0xbf4178ce, v93
	v_add_f32_e32 v18, v94, v18
	v_fmac_f32_e32 v102, 0x3e903f40, v65
	;; [unrolled: 2-line block ×4, first 2 shown]
	v_add_f32_e32 v19, v113, v18
	v_fma_f32 v18, v61, s6, -v116
	v_add_f32_e32 v18, v52, v18
	v_fma_f32 v54, v108, s12, -v119
	;; [unrolled: 2-line block ×6, first 2 shown]
	v_add_f32_e32 v14, v69, v14
	v_add_f32_e32 v52, v52, v54
	v_fma_f32 v54, v108, s6, -v109
	v_add_f32_e32 v14, v57, v14
	v_add_f32_e32 v52, v54, v52
	v_fma_f32 v54, v111, s2, -v112
	v_add_f32_e32 v14, v63, v14
	v_fmac_f32_e32 v133, 0xbf0a6770, v101
	v_add_f32_e32 v52, v54, v52
	v_fma_f32 v54, v114, s12, -v115
	v_add_f32_e32 v14, v71, v14
	v_add_f32_e32 v53, v53, v133
	v_fmac_f32_e32 v134, 0xbf68dda4, v93
	v_add_f32_e32 v52, v54, v52
	v_fma_f32 v54, v117, s3, -v118
	v_add_f32_e32 v14, v64, v14
	v_add_f32_e32 v53, v134, v53
	v_fmac_f32_e32 v67, 0xbf7d64f0, v65
	v_add_f32_e32 v52, v54, v52
	v_mul_u32_u24_e32 v54, 44, v98
	v_add_f32_e32 v14, v55, v14
	v_add_f32_e32 v53, v67, v53
	v_fmac_f32_e32 v135, 0xbf4178ce, v103
	v_or_b32_e32 v54, v54, v97
	v_add_f32_e32 v14, v100, v14
	v_add_f32_e32 v53, v135, v53
	v_fmac_f32_e32 v59, 0xbe903f40, v106
	v_lshlrev_b32_e32 v54, 3, v54
	v_add_f32_e32 v53, v59, v53
	ds_write2_b64 v54, v[14:15], v[12:13] offset1:4
	ds_write2_b64 v54, v[10:11], v[8:9] offset0:8 offset1:12
	ds_write2_b64 v54, v[6:7], v[4:5] offset0:16 offset1:20
	;; [unrolled: 1-line block ×4, first 2 shown]
	ds_write_b64 v54, v[52:53] offset:320
.LBB0_9:
	s_or_b64 exec, exec, s[0:1]
	v_add_u32_e32 v3, 0x400, v96
	s_waitcnt lgkmcnt(0)
	s_barrier
	ds_read2_b64 v[10:13], v3 offset0:92 offset1:202
	v_add_u32_e32 v5, 0xc00, v96
	ds_read2_b64 v[14:17], v5 offset0:56 offset1:166
	v_add_u32_e32 v4, 0x1400, v96
	;; [unrolled: 2-line block ×3, first 2 shown]
	ds_read2_b64 v[56:59], v2 offset0:112 offset1:222
	s_waitcnt lgkmcnt(3)
	v_mul_f32_e32 v18, v25, v11
	ds_read2_b64 v[6:9], v96 offset1:110
	v_fmac_f32_e32 v18, v24, v10
	v_mul_f32_e32 v10, v25, v10
	v_fma_f32 v19, v24, v11, -v10
	s_waitcnt lgkmcnt(3)
	v_mul_f32_e32 v24, v27, v15
	v_mul_f32_e32 v10, v27, v14
	v_fmac_f32_e32 v24, v26, v14
	v_fma_f32 v25, v26, v15, -v10
	s_waitcnt lgkmcnt(2)
	v_mul_f32_e32 v26, v21, v53
	v_fmac_f32_e32 v26, v20, v52
	v_mul_f32_e32 v10, v21, v52
	v_fma_f32 v20, v20, v53, -v10
	s_waitcnt lgkmcnt(1)
	v_mul_f32_e32 v15, v23, v57
	v_mul_f32_e32 v10, v23, v56
	;; [unrolled: 1-line block ×3, first 2 shown]
	v_add_f32_e32 v11, v24, v26
	v_fma_f32 v21, v22, v57, -v10
	v_fmac_f32_e32 v23, v32, v12
	v_mul_f32_e32 v10, v33, v12
	s_waitcnt lgkmcnt(0)
	v_fma_f32 v12, -0.5, v11, v6
	v_fmac_f32_e32 v15, v22, v56
	v_fma_f32 v27, v32, v13, -v10
	v_mul_f32_e32 v32, v35, v17
	v_mul_f32_e32 v10, v35, v16
	v_sub_f32_e32 v11, v19, v21
	v_mov_b32_e32 v14, v12
	v_fmac_f32_e32 v32, v34, v16
	v_fma_f32 v33, v34, v17, -v10
	v_fmac_f32_e32 v14, 0xbf737871, v11
	v_sub_f32_e32 v13, v25, v20
	v_sub_f32_e32 v16, v18, v24
	;; [unrolled: 1-line block ×3, first 2 shown]
	v_fmac_f32_e32 v12, 0x3f737871, v11
	v_mul_f32_e32 v34, v29, v55
	v_mul_f32_e32 v10, v29, v54
	v_fmac_f32_e32 v14, 0xbf167918, v13
	v_add_f32_e32 v16, v16, v17
	v_fmac_f32_e32 v12, 0x3f167918, v13
	v_fmac_f32_e32 v34, v28, v54
	v_fma_f32 v28, v28, v55, -v10
	v_mul_f32_e32 v29, v31, v59
	v_mul_f32_e32 v10, v31, v58
	v_fmac_f32_e32 v14, 0x3e9e377a, v16
	v_fmac_f32_e32 v12, 0x3e9e377a, v16
	v_add_f32_e32 v16, v18, v15
	v_fmac_f32_e32 v29, v30, v58
	v_fma_f32 v30, v30, v59, -v10
	v_add_f32_e32 v10, v6, v18
	v_fma_f32 v6, -0.5, v16, v6
	v_mov_b32_e32 v16, v6
	v_add_f32_e32 v10, v10, v24
	v_fmac_f32_e32 v16, 0x3f737871, v13
	v_fmac_f32_e32 v6, 0xbf737871, v13
	v_add_f32_e32 v13, v25, v20
	v_add_f32_e32 v10, v10, v26
	v_sub_f32_e32 v17, v24, v18
	v_sub_f32_e32 v22, v26, v15
	v_fma_f32 v13, -0.5, v13, v7
	v_add_f32_e32 v10, v10, v15
	v_fmac_f32_e32 v16, 0xbf167918, v11
	v_add_f32_e32 v17, v17, v22
	v_fmac_f32_e32 v6, 0x3f167918, v11
	v_sub_f32_e32 v18, v18, v15
	v_mov_b32_e32 v15, v13
	v_fmac_f32_e32 v16, 0x3e9e377a, v17
	v_fmac_f32_e32 v6, 0x3e9e377a, v17
	;; [unrolled: 1-line block ×3, first 2 shown]
	v_sub_f32_e32 v22, v24, v26
	v_sub_f32_e32 v17, v19, v25
	;; [unrolled: 1-line block ×3, first 2 shown]
	v_fmac_f32_e32 v13, 0xbf737871, v18
	v_fmac_f32_e32 v15, 0x3f167918, v22
	v_add_f32_e32 v17, v17, v24
	v_fmac_f32_e32 v13, 0xbf167918, v22
	v_fmac_f32_e32 v15, 0x3e9e377a, v17
	;; [unrolled: 1-line block ×3, first 2 shown]
	v_add_f32_e32 v17, v19, v21
	v_add_f32_e32 v11, v7, v19
	v_fma_f32 v7, -0.5, v17, v7
	v_add_f32_e32 v11, v11, v25
	v_mov_b32_e32 v17, v7
	v_add_f32_e32 v11, v11, v20
	v_fmac_f32_e32 v17, 0xbf737871, v22
	v_sub_f32_e32 v19, v25, v19
	v_sub_f32_e32 v20, v20, v21
	v_fmac_f32_e32 v7, 0x3f737871, v22
	v_fmac_f32_e32 v17, 0x3f167918, v18
	v_add_f32_e32 v19, v19, v20
	v_fmac_f32_e32 v7, 0xbf167918, v18
	v_fmac_f32_e32 v17, 0x3e9e377a, v19
	;; [unrolled: 1-line block ×3, first 2 shown]
	v_add_f32_e32 v19, v32, v34
	v_fma_f32 v20, -0.5, v19, v8
	v_sub_f32_e32 v19, v27, v30
	v_mov_b32_e32 v22, v20
	v_add_f32_e32 v11, v11, v21
	v_fmac_f32_e32 v22, 0xbf737871, v19
	v_sub_f32_e32 v21, v33, v28
	v_sub_f32_e32 v24, v23, v32
	;; [unrolled: 1-line block ×3, first 2 shown]
	v_fmac_f32_e32 v20, 0x3f737871, v19
	v_fmac_f32_e32 v22, 0xbf167918, v21
	v_add_f32_e32 v24, v24, v25
	v_fmac_f32_e32 v20, 0x3f167918, v21
	v_fmac_f32_e32 v22, 0x3e9e377a, v24
	;; [unrolled: 1-line block ×3, first 2 shown]
	v_add_f32_e32 v24, v23, v29
	v_add_f32_e32 v18, v8, v23
	v_fma_f32 v8, -0.5, v24, v8
	v_mov_b32_e32 v24, v8
	v_fmac_f32_e32 v24, 0x3f737871, v21
	v_fmac_f32_e32 v8, 0xbf737871, v21
	v_add_f32_e32 v21, v33, v28
	v_add_f32_e32 v18, v18, v32
	v_sub_f32_e32 v25, v32, v23
	v_sub_f32_e32 v26, v34, v29
	v_fma_f32 v21, -0.5, v21, v9
	v_add_f32_e32 v18, v18, v34
	v_fmac_f32_e32 v24, 0xbf167918, v19
	v_add_f32_e32 v25, v25, v26
	v_fmac_f32_e32 v8, 0x3f167918, v19
	v_sub_f32_e32 v26, v23, v29
	v_mov_b32_e32 v23, v21
	v_add_f32_e32 v18, v18, v29
	v_fmac_f32_e32 v24, 0x3e9e377a, v25
	v_fmac_f32_e32 v8, 0x3e9e377a, v25
	;; [unrolled: 1-line block ×3, first 2 shown]
	v_sub_f32_e32 v29, v32, v34
	v_sub_f32_e32 v25, v27, v33
	;; [unrolled: 1-line block ×3, first 2 shown]
	v_fmac_f32_e32 v21, 0xbf737871, v26
	v_fmac_f32_e32 v23, 0x3f167918, v29
	v_add_f32_e32 v25, v25, v31
	v_fmac_f32_e32 v21, 0xbf167918, v29
	v_fmac_f32_e32 v23, 0x3e9e377a, v25
	;; [unrolled: 1-line block ×3, first 2 shown]
	v_add_f32_e32 v25, v27, v30
	v_add_f32_e32 v19, v9, v27
	v_fmac_f32_e32 v9, -0.5, v25
	v_add_f32_e32 v19, v19, v33
	v_mov_b32_e32 v25, v9
	v_add_f32_e32 v19, v19, v28
	v_fmac_f32_e32 v25, 0xbf737871, v29
	v_sub_f32_e32 v27, v33, v27
	v_sub_f32_e32 v28, v28, v30
	v_fmac_f32_e32 v9, 0x3f737871, v29
	v_fmac_f32_e32 v25, 0x3f167918, v26
	v_add_f32_e32 v27, v27, v28
	v_fmac_f32_e32 v9, 0xbf167918, v26
	v_add_f32_e32 v19, v19, v30
	v_fmac_f32_e32 v25, 0x3e9e377a, v27
	v_fmac_f32_e32 v9, 0x3e9e377a, v27
	s_barrier
	ds_write2_b64 v104, v[10:11], v[14:15] offset1:44
	ds_write2_b64 v104, v[16:17], v[6:7] offset0:88 offset1:132
	ds_write_b64 v104, v[12:13] offset:1408
	ds_write2_b64 v105, v[18:19], v[22:23] offset1:44
	ds_write2_b64 v105, v[24:25], v[8:9] offset0:88 offset1:132
	ds_write_b64 v105, v[20:21] offset:1408
	s_waitcnt lgkmcnt(0)
	s_barrier
	ds_read2_b64 v[6:9], v3 offset0:92 offset1:202
	ds_read2_b64 v[10:13], v96 offset1:110
	ds_read2_b64 v[14:17], v5 offset0:56 offset1:166
	ds_read2_b64 v[18:21], v4 offset0:20 offset1:130
	;; [unrolled: 1-line block ×3, first 2 shown]
	s_waitcnt lgkmcnt(4)
	v_mul_f32_e32 v26, v45, v7
	v_fmac_f32_e32 v26, v44, v6
	v_mul_f32_e32 v6, v45, v6
	v_fma_f32 v27, v44, v7, -v6
	s_waitcnt lgkmcnt(2)
	v_mul_f32_e32 v6, v47, v14
	v_mul_f32_e32 v28, v47, v15
	v_fma_f32 v29, v46, v15, -v6
	s_waitcnt lgkmcnt(1)
	v_mul_f32_e32 v30, v37, v19
	v_mul_f32_e32 v6, v37, v18
	v_fmac_f32_e32 v28, v46, v14
	v_fmac_f32_e32 v30, v36, v18
	v_fma_f32 v18, v36, v19, -v6
	s_waitcnt lgkmcnt(0)
	v_mul_f32_e32 v6, v39, v22
	v_mul_f32_e32 v15, v39, v23
	v_fma_f32 v19, v38, v23, -v6
	v_mul_f32_e32 v23, v49, v9
	v_add_f32_e32 v7, v28, v30
	v_fmac_f32_e32 v23, v48, v8
	v_mul_f32_e32 v6, v49, v8
	v_fma_f32 v8, -0.5, v7, v10
	v_fmac_f32_e32 v15, v38, v22
	v_fma_f32 v31, v48, v9, -v6
	v_mul_f32_e32 v32, v51, v17
	v_mul_f32_e32 v6, v51, v16
	v_sub_f32_e32 v7, v27, v19
	v_mov_b32_e32 v14, v8
	v_fmac_f32_e32 v32, v50, v16
	v_fma_f32 v33, v50, v17, -v6
	v_fmac_f32_e32 v14, 0xbf737871, v7
	v_sub_f32_e32 v9, v29, v18
	v_sub_f32_e32 v16, v26, v28
	;; [unrolled: 1-line block ×3, first 2 shown]
	v_fmac_f32_e32 v8, 0x3f737871, v7
	v_mul_f32_e32 v6, v41, v20
	v_fmac_f32_e32 v14, 0xbf167918, v9
	v_add_f32_e32 v16, v16, v17
	v_fmac_f32_e32 v8, 0x3f167918, v9
	v_fma_f32 v35, v40, v21, -v6
	v_mul_f32_e32 v6, v43, v24
	v_fmac_f32_e32 v14, 0x3e9e377a, v16
	v_fmac_f32_e32 v8, 0x3e9e377a, v16
	v_add_f32_e32 v16, v26, v15
	v_fma_f32 v37, v42, v25, -v6
	v_add_f32_e32 v6, v10, v26
	v_fma_f32 v10, -0.5, v16, v10
	v_mov_b32_e32 v16, v10
	v_mul_f32_e32 v34, v41, v21
	v_add_f32_e32 v6, v6, v28
	v_fmac_f32_e32 v16, 0x3f737871, v9
	v_fmac_f32_e32 v10, 0xbf737871, v9
	v_add_f32_e32 v9, v29, v18
	v_fmac_f32_e32 v34, v40, v20
	v_add_f32_e32 v6, v6, v30
	v_sub_f32_e32 v17, v28, v26
	v_sub_f32_e32 v20, v30, v15
	v_fma_f32 v9, -0.5, v9, v11
	v_add_f32_e32 v6, v6, v15
	v_fmac_f32_e32 v16, 0xbf167918, v7
	v_add_f32_e32 v17, v17, v20
	v_fmac_f32_e32 v10, 0x3f167918, v7
	v_sub_f32_e32 v20, v26, v15
	v_mov_b32_e32 v15, v9
	v_fmac_f32_e32 v16, 0x3e9e377a, v17
	v_fmac_f32_e32 v10, 0x3e9e377a, v17
	;; [unrolled: 1-line block ×3, first 2 shown]
	v_sub_f32_e32 v21, v28, v30
	v_sub_f32_e32 v17, v27, v29
	;; [unrolled: 1-line block ×3, first 2 shown]
	v_fmac_f32_e32 v9, 0xbf737871, v20
	v_fmac_f32_e32 v15, 0x3f167918, v21
	v_add_f32_e32 v17, v17, v22
	v_fmac_f32_e32 v9, 0xbf167918, v21
	v_add_f32_e32 v7, v11, v27
	v_fmac_f32_e32 v15, 0x3e9e377a, v17
	v_fmac_f32_e32 v9, 0x3e9e377a, v17
	v_add_f32_e32 v17, v27, v19
	v_add_f32_e32 v7, v7, v29
	v_fma_f32 v11, -0.5, v17, v11
	v_add_f32_e32 v7, v7, v18
	v_mov_b32_e32 v17, v11
	v_add_f32_e32 v7, v7, v19
	v_fmac_f32_e32 v17, 0xbf737871, v21
	v_sub_f32_e32 v18, v18, v19
	v_fmac_f32_e32 v11, 0x3f737871, v21
	v_add_f32_e32 v19, v32, v34
	v_mul_f32_e32 v36, v43, v25
	v_fmac_f32_e32 v17, 0x3f167918, v20
	v_sub_f32_e32 v22, v29, v27
	v_fmac_f32_e32 v11, 0xbf167918, v20
	v_fma_f32 v20, -0.5, v19, v12
	v_fmac_f32_e32 v36, v42, v24
	v_add_f32_e32 v18, v22, v18
	v_sub_f32_e32 v19, v31, v37
	v_mov_b32_e32 v22, v20
	v_fmac_f32_e32 v22, 0xbf737871, v19
	v_sub_f32_e32 v21, v33, v35
	v_sub_f32_e32 v24, v23, v32
	;; [unrolled: 1-line block ×3, first 2 shown]
	v_fmac_f32_e32 v20, 0x3f737871, v19
	v_fmac_f32_e32 v22, 0xbf167918, v21
	v_add_f32_e32 v24, v24, v25
	v_fmac_f32_e32 v20, 0x3f167918, v21
	v_fmac_f32_e32 v22, 0x3e9e377a, v24
	;; [unrolled: 1-line block ×3, first 2 shown]
	v_add_f32_e32 v24, v23, v36
	v_fmac_f32_e32 v17, 0x3e9e377a, v18
	v_fmac_f32_e32 v11, 0x3e9e377a, v18
	v_add_f32_e32 v18, v12, v23
	v_fma_f32 v12, -0.5, v24, v12
	v_mov_b32_e32 v24, v12
	v_fmac_f32_e32 v24, 0x3f737871, v21
	v_fmac_f32_e32 v12, 0xbf737871, v21
	v_add_f32_e32 v21, v33, v35
	v_sub_f32_e32 v25, v32, v23
	v_sub_f32_e32 v26, v34, v36
	v_fma_f32 v21, -0.5, v21, v13
	v_fmac_f32_e32 v24, 0xbf167918, v19
	v_add_f32_e32 v25, v25, v26
	v_fmac_f32_e32 v12, 0x3f167918, v19
	v_sub_f32_e32 v26, v23, v36
	v_mov_b32_e32 v23, v21
	v_fmac_f32_e32 v24, 0x3e9e377a, v25
	v_fmac_f32_e32 v12, 0x3e9e377a, v25
	v_fmac_f32_e32 v23, 0x3f737871, v26
	v_sub_f32_e32 v27, v32, v34
	v_sub_f32_e32 v25, v31, v33
	v_sub_f32_e32 v28, v37, v35
	v_fmac_f32_e32 v21, 0xbf737871, v26
	v_fmac_f32_e32 v23, 0x3f167918, v27
	v_add_f32_e32 v25, v25, v28
	v_fmac_f32_e32 v21, 0xbf167918, v27
	v_fmac_f32_e32 v23, 0x3e9e377a, v25
	;; [unrolled: 1-line block ×3, first 2 shown]
	v_add_f32_e32 v25, v31, v37
	v_add_f32_e32 v19, v13, v31
	v_fmac_f32_e32 v13, -0.5, v25
	v_mov_b32_e32 v25, v13
	v_add_f32_e32 v18, v18, v32
	v_add_f32_e32 v19, v19, v33
	v_fmac_f32_e32 v25, 0xbf737871, v27
	v_sub_f32_e32 v28, v33, v31
	v_sub_f32_e32 v29, v35, v37
	v_fmac_f32_e32 v13, 0x3f737871, v27
	v_add_f32_e32 v18, v18, v34
	v_add_f32_e32 v19, v19, v35
	v_fmac_f32_e32 v25, 0x3f167918, v26
	v_add_f32_e32 v28, v28, v29
	v_fmac_f32_e32 v13, 0xbf167918, v26
	v_add_f32_e32 v18, v18, v36
	v_add_f32_e32 v19, v19, v37
	v_fmac_f32_e32 v25, 0x3e9e377a, v28
	v_fmac_f32_e32 v13, 0x3e9e377a, v28
	ds_write_b64 v96, v[14:15] offset:1760
	ds_write_b64 v96, v[16:17] offset:3520
	;; [unrolled: 1-line block ×4, first 2 shown]
	ds_write2_b64 v96, v[6:7], v[18:19] offset1:110
	ds_write_b64 v96, v[22:23] offset:2640
	ds_write_b64 v96, v[24:25] offset:4400
	;; [unrolled: 1-line block ×4, first 2 shown]
	s_waitcnt lgkmcnt(0)
	s_barrier
	ds_read2_b64 v[6:9], v96 offset1:110
	v_mad_u64_u32 v[0:1], s[0:1], s10, v84, 0
	v_mad_u64_u32 v[14:15], s[2:3], s8, v95, 0
	v_mad_u64_u32 v[10:11], s[0:1], s11, v84, v[1:2]
	s_waitcnt lgkmcnt(0)
	v_mul_f32_e32 v1, v90, v7
	v_fmac_f32_e32 v1, v89, v6
	v_cvt_f64_f32_e32 v[11:12], v1
	s_mov_b32 s0, 0xdca01dca
	s_mov_b32 s1, 0x3f4dca01
	v_mul_f32_e32 v1, v90, v6
	v_mul_f64 v[11:12], v[11:12], s[0:1]
	v_fma_f32 v1, v89, v7, -v1
	v_cvt_f64_f32_e32 v[6:7], v1
	v_mov_b32_e32 v1, v10
	v_mov_b32_e32 v10, v15
	v_lshlrev_b64 v[0:1], 3, v[0:1]
	v_mul_f64 v[6:7], v[6:7], s[0:1]
	v_add_co_u32_e32 v18, vcc, s4, v0
	v_mad_u64_u32 v[15:16], s[2:3], s9, v95, v[10:11]
	v_cvt_f32_f64_e32 v16, v[11:12]
	ds_read2_b64 v[10:13], v5 offset0:56 offset1:166
	s_mul_i32 s2, s9, 0x1130
	v_cvt_f32_f64_e32 v17, v[6:7]
	v_mov_b32_e32 v7, s5
	v_addc_co_u32_e32 v7, vcc, v7, v1, vcc
	s_waitcnt lgkmcnt(0)
	v_mul_f32_e32 v5, v86, v13
	v_fmac_f32_e32 v5, v85, v12
	v_mul_f32_e32 v12, v86, v12
	v_fma_f32 v12, v85, v13, -v12
	v_cvt_f64_f32_e32 v[5:6], v5
	v_cvt_f64_f32_e32 v[12:13], v12
	s_mul_hi_u32 s3, s8, 0x1130
	s_add_i32 s2, s3, s2
	v_mul_f64 v[0:1], v[5:6], s[0:1]
	v_mul_f64 v[5:6], v[12:13], s[0:1]
	v_lshlrev_b64 v[12:13], 3, v[14:15]
	s_mul_i32 s3, s8, 0x1130
	v_add_co_u32_e32 v12, vcc, v18, v12
	v_addc_co_u32_e32 v13, vcc, v7, v13, vcc
	v_cvt_f32_f64_e32 v0, v[0:1]
	v_cvt_f32_f64_e32 v1, v[5:6]
	v_mul_f32_e32 v5, v92, v9
	v_mul_f32_e32 v7, v92, v8
	v_fmac_f32_e32 v5, v91, v8
	v_fma_f32 v7, v91, v9, -v7
	v_cvt_f64_f32_e32 v[5:6], v5
	v_cvt_f64_f32_e32 v[7:8], v7
	global_store_dwordx2 v[12:13], v[16:17], off
	v_mov_b32_e32 v9, s2
	v_mul_f64 v[5:6], v[5:6], s[0:1]
	v_mul_f64 v[7:8], v[7:8], s[0:1]
	v_add_co_u32_e32 v12, vcc, s3, v12
	v_addc_co_u32_e32 v13, vcc, v13, v9, vcc
	global_store_dwordx2 v[12:13], v[0:1], off
	s_mul_hi_u32 s5, s8, 0xfffff240
	v_cvt_f32_f64_e32 v0, v[5:6]
	v_cvt_f32_f64_e32 v1, v[7:8]
	ds_read2_b64 v[4:7], v4 offset0:20 offset1:130
	s_mul_i32 s4, s9, 0xfffff240
	s_sub_i32 s5, s5, s8
	s_add_i32 s4, s5, s4
	s_mul_i32 s5, s8, 0xfffff240
	s_waitcnt lgkmcnt(0)
	v_mul_f32_e32 v8, v88, v5
	v_fmac_f32_e32 v8, v87, v4
	v_cvt_f64_f32_e32 v[8:9], v8
	v_mul_f32_e32 v4, v88, v4
	v_fma_f32 v4, v87, v5, -v4
	v_cvt_f64_f32_e32 v[4:5], v4
	v_mul_f64 v[8:9], v[8:9], s[0:1]
	v_mov_b32_e32 v14, s4
	v_add_co_u32_e32 v16, vcc, s5, v12
	v_mul_f64 v[4:5], v[4:5], s[0:1]
	v_addc_co_u32_e32 v17, vcc, v13, v14, vcc
	ds_read2_b64 v[12:15], v3 offset0:92 offset1:202
	global_store_dwordx2 v[16:17], v[0:1], off
	v_cvt_f32_f64_e32 v0, v[8:9]
	s_waitcnt lgkmcnt(0)
	v_mul_f32_e32 v3, v83, v13
	v_mul_f32_e32 v8, v83, v12
	v_fmac_f32_e32 v3, v82, v12
	v_fma_f32 v8, v82, v13, -v8
	v_cvt_f32_f64_e32 v1, v[4:5]
	v_cvt_f64_f32_e32 v[3:4], v3
	v_cvt_f64_f32_e32 v[8:9], v8
	v_mov_b32_e32 v5, s2
	v_add_co_u32_e32 v12, vcc, s3, v16
	v_addc_co_u32_e32 v13, vcc, v17, v5, vcc
	global_store_dwordx2 v[12:13], v[0:1], off
	v_mul_f64 v[0:1], v[3:4], s[0:1]
	v_mul_f64 v[3:4], v[8:9], s[0:1]
	v_mul_f32_e32 v5, v81, v7
	v_fmac_f32_e32 v5, v80, v6
	v_cvt_f64_f32_e32 v[8:9], v5
	v_mul_f32_e32 v5, v81, v6
	v_fma_f32 v5, v80, v7, -v5
	v_cvt_f64_f32_e32 v[5:6], v5
	v_cvt_f32_f64_e32 v0, v[0:1]
	v_cvt_f32_f64_e32 v1, v[3:4]
	v_mul_f64 v[3:4], v[8:9], s[0:1]
	v_mul_f64 v[5:6], v[5:6], s[0:1]
	v_mov_b32_e32 v8, s4
	v_add_co_u32_e32 v7, vcc, s5, v12
	v_addc_co_u32_e32 v8, vcc, v13, v8, vcc
	global_store_dwordx2 v[7:8], v[0:1], off
	v_mul_f32_e32 v0, v79, v15
	v_fmac_f32_e32 v0, v78, v14
	v_cvt_f64_f32_e32 v[12:13], v0
	v_mul_f32_e32 v0, v79, v14
	v_fma_f32 v0, v78, v15, -v0
	v_cvt_f32_f64_e32 v4, v[3:4]
	v_cvt_f32_f64_e32 v5, v[5:6]
	v_cvt_f64_f32_e32 v[14:15], v0
	ds_read2_b64 v[0:3], v2 offset0:112 offset1:222
	v_mov_b32_e32 v9, s2
	v_add_co_u32_e32 v6, vcc, s3, v7
	v_addc_co_u32_e32 v7, vcc, v8, v9, vcc
	global_store_dwordx2 v[6:7], v[4:5], off
	v_mul_f64 v[4:5], v[12:13], s[0:1]
	v_mul_f64 v[8:9], v[14:15], s[0:1]
	s_waitcnt lgkmcnt(0)
	v_mul_f32_e32 v12, v77, v1
	v_fmac_f32_e32 v12, v76, v0
	v_mul_f32_e32 v0, v77, v0
	v_fma_f32 v0, v76, v1, -v0
	v_cvt_f64_f32_e32 v[12:13], v12
	v_cvt_f64_f32_e32 v[0:1], v0
	v_cvt_f32_f64_e32 v4, v[4:5]
	v_cvt_f32_f64_e32 v5, v[8:9]
	v_mul_f64 v[8:9], v[12:13], s[0:1]
	v_mul_f64 v[0:1], v[0:1], s[0:1]
	v_mov_b32_e32 v12, s4
	v_add_co_u32_e32 v6, vcc, s5, v6
	v_addc_co_u32_e32 v7, vcc, v7, v12, vcc
	global_store_dwordx2 v[6:7], v[4:5], off
	v_cvt_f32_f64_e32 v4, v[8:9]
	v_cvt_f32_f64_e32 v5, v[0:1]
	v_mul_f32_e32 v0, v75, v11
	v_mul_f32_e32 v8, v75, v10
	v_fmac_f32_e32 v0, v74, v10
	v_fma_f32 v8, v74, v11, -v8
	v_cvt_f64_f32_e32 v[0:1], v0
	v_cvt_f64_f32_e32 v[8:9], v8
	v_mov_b32_e32 v12, s2
	v_add_co_u32_e32 v6, vcc, s3, v6
	v_addc_co_u32_e32 v7, vcc, v7, v12, vcc
	global_store_dwordx2 v[6:7], v[4:5], off
	v_mul_f64 v[0:1], v[0:1], s[0:1]
	v_mul_f64 v[4:5], v[8:9], s[0:1]
	v_mul_f32_e32 v8, v73, v3
	v_fmac_f32_e32 v8, v72, v2
	v_mul_f32_e32 v2, v73, v2
	v_fma_f32 v2, v72, v3, -v2
	v_cvt_f64_f32_e32 v[8:9], v8
	v_cvt_f64_f32_e32 v[2:3], v2
	v_cvt_f32_f64_e32 v0, v[0:1]
	v_cvt_f32_f64_e32 v1, v[4:5]
	v_mul_f64 v[4:5], v[8:9], s[0:1]
	v_mul_f64 v[2:3], v[2:3], s[0:1]
	v_mov_b32_e32 v8, s4
	v_add_co_u32_e32 v6, vcc, s5, v6
	v_addc_co_u32_e32 v7, vcc, v7, v8, vcc
	global_store_dwordx2 v[6:7], v[0:1], off
	v_cvt_f32_f64_e32 v0, v[4:5]
	v_cvt_f32_f64_e32 v1, v[2:3]
	v_mov_b32_e32 v3, s2
	v_add_co_u32_e32 v2, vcc, s3, v6
	v_addc_co_u32_e32 v3, vcc, v7, v3, vcc
	global_store_dwordx2 v[2:3], v[0:1], off
.LBB0_10:
	s_endpgm
	.section	.rodata,"a",@progbits
	.p2align	6, 0x0
	.amdhsa_kernel bluestein_single_fwd_len1100_dim1_sp_op_CI_CI
		.amdhsa_group_segment_fixed_size 8800
		.amdhsa_private_segment_fixed_size 0
		.amdhsa_kernarg_size 104
		.amdhsa_user_sgpr_count 6
		.amdhsa_user_sgpr_private_segment_buffer 1
		.amdhsa_user_sgpr_dispatch_ptr 0
		.amdhsa_user_sgpr_queue_ptr 0
		.amdhsa_user_sgpr_kernarg_segment_ptr 1
		.amdhsa_user_sgpr_dispatch_id 0
		.amdhsa_user_sgpr_flat_scratch_init 0
		.amdhsa_user_sgpr_private_segment_size 0
		.amdhsa_uses_dynamic_stack 0
		.amdhsa_system_sgpr_private_segment_wavefront_offset 0
		.amdhsa_system_sgpr_workgroup_id_x 1
		.amdhsa_system_sgpr_workgroup_id_y 0
		.amdhsa_system_sgpr_workgroup_id_z 0
		.amdhsa_system_sgpr_workgroup_info 0
		.amdhsa_system_vgpr_workitem_id 0
		.amdhsa_next_free_vgpr 151
		.amdhsa_next_free_sgpr 20
		.amdhsa_reserve_vcc 1
		.amdhsa_reserve_flat_scratch 0
		.amdhsa_float_round_mode_32 0
		.amdhsa_float_round_mode_16_64 0
		.amdhsa_float_denorm_mode_32 3
		.amdhsa_float_denorm_mode_16_64 3
		.amdhsa_dx10_clamp 1
		.amdhsa_ieee_mode 1
		.amdhsa_fp16_overflow 0
		.amdhsa_exception_fp_ieee_invalid_op 0
		.amdhsa_exception_fp_denorm_src 0
		.amdhsa_exception_fp_ieee_div_zero 0
		.amdhsa_exception_fp_ieee_overflow 0
		.amdhsa_exception_fp_ieee_underflow 0
		.amdhsa_exception_fp_ieee_inexact 0
		.amdhsa_exception_int_div_zero 0
	.end_amdhsa_kernel
	.text
.Lfunc_end0:
	.size	bluestein_single_fwd_len1100_dim1_sp_op_CI_CI, .Lfunc_end0-bluestein_single_fwd_len1100_dim1_sp_op_CI_CI
                                        ; -- End function
	.section	.AMDGPU.csdata,"",@progbits
; Kernel info:
; codeLenInByte = 12456
; NumSgprs: 24
; NumVgprs: 151
; ScratchSize: 0
; MemoryBound: 0
; FloatMode: 240
; IeeeMode: 1
; LDSByteSize: 8800 bytes/workgroup (compile time only)
; SGPRBlocks: 2
; VGPRBlocks: 37
; NumSGPRsForWavesPerEU: 24
; NumVGPRsForWavesPerEU: 151
; Occupancy: 1
; WaveLimiterHint : 1
; COMPUTE_PGM_RSRC2:SCRATCH_EN: 0
; COMPUTE_PGM_RSRC2:USER_SGPR: 6
; COMPUTE_PGM_RSRC2:TRAP_HANDLER: 0
; COMPUTE_PGM_RSRC2:TGID_X_EN: 1
; COMPUTE_PGM_RSRC2:TGID_Y_EN: 0
; COMPUTE_PGM_RSRC2:TGID_Z_EN: 0
; COMPUTE_PGM_RSRC2:TIDIG_COMP_CNT: 0
	.type	__hip_cuid_c971c2383806570d,@object ; @__hip_cuid_c971c2383806570d
	.section	.bss,"aw",@nobits
	.globl	__hip_cuid_c971c2383806570d
__hip_cuid_c971c2383806570d:
	.byte	0                               ; 0x0
	.size	__hip_cuid_c971c2383806570d, 1

	.ident	"AMD clang version 19.0.0git (https://github.com/RadeonOpenCompute/llvm-project roc-6.4.0 25133 c7fe45cf4b819c5991fe208aaa96edf142730f1d)"
	.section	".note.GNU-stack","",@progbits
	.addrsig
	.addrsig_sym __hip_cuid_c971c2383806570d
	.amdgpu_metadata
---
amdhsa.kernels:
  - .args:
      - .actual_access:  read_only
        .address_space:  global
        .offset:         0
        .size:           8
        .value_kind:     global_buffer
      - .actual_access:  read_only
        .address_space:  global
        .offset:         8
        .size:           8
        .value_kind:     global_buffer
      - .actual_access:  read_only
        .address_space:  global
        .offset:         16
        .size:           8
        .value_kind:     global_buffer
      - .actual_access:  read_only
        .address_space:  global
        .offset:         24
        .size:           8
        .value_kind:     global_buffer
      - .actual_access:  read_only
        .address_space:  global
        .offset:         32
        .size:           8
        .value_kind:     global_buffer
      - .offset:         40
        .size:           8
        .value_kind:     by_value
      - .address_space:  global
        .offset:         48
        .size:           8
        .value_kind:     global_buffer
      - .address_space:  global
        .offset:         56
        .size:           8
        .value_kind:     global_buffer
      - .address_space:  global
        .offset:         64
        .size:           8
        .value_kind:     global_buffer
      - .address_space:  global
        .offset:         72
        .size:           8
        .value_kind:     global_buffer
      - .offset:         80
        .size:           4
        .value_kind:     by_value
      - .address_space:  global
        .offset:         88
        .size:           8
        .value_kind:     global_buffer
      - .address_space:  global
        .offset:         96
        .size:           8
        .value_kind:     global_buffer
    .group_segment_fixed_size: 8800
    .kernarg_segment_align: 8
    .kernarg_segment_size: 104
    .language:       OpenCL C
    .language_version:
      - 2
      - 0
    .max_flat_workgroup_size: 110
    .name:           bluestein_single_fwd_len1100_dim1_sp_op_CI_CI
    .private_segment_fixed_size: 0
    .sgpr_count:     24
    .sgpr_spill_count: 0
    .symbol:         bluestein_single_fwd_len1100_dim1_sp_op_CI_CI.kd
    .uniform_work_group_size: 1
    .uses_dynamic_stack: false
    .vgpr_count:     151
    .vgpr_spill_count: 0
    .wavefront_size: 64
amdhsa.target:   amdgcn-amd-amdhsa--gfx906
amdhsa.version:
  - 1
  - 2
...

	.end_amdgpu_metadata
